;; amdgpu-corpus repo=ROCm/rocFFT kind=compiled arch=gfx1201 opt=O3
	.text
	.amdgcn_target "amdgcn-amd-amdhsa--gfx1201"
	.amdhsa_code_object_version 6
	.protected	bluestein_single_back_len1190_dim1_half_op_CI_CI ; -- Begin function bluestein_single_back_len1190_dim1_half_op_CI_CI
	.globl	bluestein_single_back_len1190_dim1_half_op_CI_CI
	.p2align	8
	.type	bluestein_single_back_len1190_dim1_half_op_CI_CI,@function
bluestein_single_back_len1190_dim1_half_op_CI_CI: ; @bluestein_single_back_len1190_dim1_half_op_CI_CI
; %bb.0:
	s_load_b128 s[8:11], s[0:1], 0x28
	v_mul_u32_u24_e32 v1, 0x304, v0
	s_mov_b32 s2, exec_lo
	s_delay_alu instid0(VALU_DEP_1) | instskip(NEXT) | instid1(VALU_DEP_1)
	v_lshrrev_b32_e32 v1, 16, v1
	v_mad_co_u64_u32 v[20:21], null, ttmp9, 3, v[1:2]
	v_mov_b32_e32 v21, 0
                                        ; kill: def $vgpr2 killed $sgpr0 killed $exec
	s_wait_kmcnt 0x0
	s_delay_alu instid0(VALU_DEP_1)
	v_cmpx_gt_u64_e64 s[8:9], v[20:21]
	s_cbranch_execz .LBB0_23
; %bb.1:
	v_mul_hi_u32 v2, 0xaaaaaaab, v20
	s_clause 0x1
	s_load_b64 s[8:9], s[0:1], 0x0
	s_load_b64 s[12:13], s[0:1], 0x38
	v_mul_lo_u16 v1, 0x55, v1
	s_delay_alu instid0(VALU_DEP_1) | instskip(NEXT) | instid1(VALU_DEP_3)
	v_sub_nc_u16 v0, v0, v1
	v_lshrrev_b32_e32 v2, 1, v2
	s_delay_alu instid0(VALU_DEP_2) | instskip(NEXT) | instid1(VALU_DEP_2)
	v_and_b32_e32 v42, 0xffff, v0
	v_lshl_add_u32 v2, v2, 1, v2
	v_cmp_gt_u16_e32 vcc_lo, 0x46, v0
	s_delay_alu instid0(VALU_DEP_3) | instskip(NEXT) | instid1(VALU_DEP_3)
	v_lshlrev_b32_e32 v41, 2, v42
	v_sub_nc_u32_e32 v1, v20, v2
	s_delay_alu instid0(VALU_DEP_1) | instskip(NEXT) | instid1(VALU_DEP_1)
	v_mul_u32_u24_e32 v29, 0x4a6, v1
	v_lshlrev_b32_e32 v43, 2, v29
	s_and_saveexec_b32 s3, vcc_lo
	s_cbranch_execz .LBB0_3
; %bb.2:
	s_load_b64 s[4:5], s[0:1], 0x18
	s_wait_kmcnt 0x0
	s_load_b128 s[4:7], s[4:5], 0x0
	s_wait_kmcnt 0x0
	v_mad_co_u64_u32 v[0:1], null, s6, v20, 0
	v_mad_co_u64_u32 v[2:3], null, s4, v42, 0
	s_delay_alu instid0(VALU_DEP_1) | instskip(NEXT) | instid1(VALU_DEP_1)
	v_mad_co_u64_u32 v[4:5], null, s7, v20, v[1:2]
	v_mad_co_u64_u32 v[5:6], null, s5, v42, v[3:4]
	v_mov_b32_e32 v1, v4
	s_mul_u64 s[4:5], s[4:5], 0x118
	s_delay_alu instid0(VALU_DEP_1) | instskip(NEXT) | instid1(VALU_DEP_3)
	v_lshlrev_b64_e32 v[0:1], 2, v[0:1]
	v_mov_b32_e32 v3, v5
	s_clause 0xe
	global_load_b32 v4, v41, s[8:9]
	global_load_b32 v5, v41, s[8:9] offset:280
	global_load_b32 v6, v41, s[8:9] offset:560
	;; [unrolled: 1-line block ×14, first 2 shown]
	v_lshlrev_b64_e32 v[2:3], 2, v[2:3]
	v_add_co_u32 v0, s2, s10, v0
	s_delay_alu instid0(VALU_DEP_1) | instskip(NEXT) | instid1(VALU_DEP_2)
	v_add_co_ci_u32_e64 v1, s2, s11, v1, s2
	v_add_co_u32 v0, s2, v0, v2
	s_wait_alu 0xf1ff
	s_delay_alu instid0(VALU_DEP_2) | instskip(SKIP_1) | instid1(VALU_DEP_2)
	v_add_co_ci_u32_e64 v1, s2, v1, v3, s2
	s_wait_alu 0xfffe
	v_add_co_u32 v2, s2, v0, s4
	s_wait_alu 0xf1ff
	s_delay_alu instid0(VALU_DEP_2)
	v_add_co_ci_u32_e64 v3, s2, s5, v1, s2
	global_load_b32 v19, v[0:1], off
	v_add_co_u32 v0, s2, v2, s4
	s_wait_alu 0xf1ff
	v_add_co_ci_u32_e64 v1, s2, s5, v3, s2
	global_load_b32 v21, v41, s[8:9] offset:4200
	global_load_b32 v22, v[2:3], off
	global_load_b32 v23, v41, s[8:9] offset:4480
	global_load_b32 v24, v[0:1], off
	v_add_co_u32 v0, s2, v0, s4
	s_wait_alu 0xf1ff
	v_add_co_ci_u32_e64 v1, s2, s5, v1, s2
	s_delay_alu instid0(VALU_DEP_2) | instskip(SKIP_1) | instid1(VALU_DEP_2)
	v_add_co_u32 v2, s2, v0, s4
	s_wait_alu 0xf1ff
	v_add_co_ci_u32_e64 v3, s2, s5, v1, s2
	s_clause 0x1
	global_load_b32 v25, v[0:1], off
	global_load_b32 v26, v[2:3], off
	v_add_co_u32 v0, s2, v2, s4
	s_wait_alu 0xf1ff
	v_add_co_ci_u32_e64 v1, s2, s5, v3, s2
	s_delay_alu instid0(VALU_DEP_2) | instskip(SKIP_1) | instid1(VALU_DEP_2)
	v_add_co_u32 v2, s2, v0, s4
	s_wait_alu 0xf1ff
	v_add_co_ci_u32_e64 v3, s2, s5, v1, s2
	global_load_b32 v27, v[0:1], off
	v_add_co_u32 v0, s2, v2, s4
	s_wait_alu 0xf1ff
	v_add_co_ci_u32_e64 v1, s2, s5, v3, s2
	global_load_b32 v28, v[2:3], off
	global_load_b32 v30, v[0:1], off
	v_add_co_u32 v0, s2, v0, s4
	s_wait_alu 0xf1ff
	v_add_co_ci_u32_e64 v1, s2, s5, v1, s2
	s_delay_alu instid0(VALU_DEP_2) | instskip(SKIP_1) | instid1(VALU_DEP_2)
	v_add_co_u32 v2, s2, v0, s4
	s_wait_alu 0xf1ff
	v_add_co_ci_u32_e64 v3, s2, s5, v1, s2
	global_load_b32 v31, v[0:1], off
	v_add_co_u32 v0, s2, v2, s4
	s_wait_alu 0xf1ff
	v_add_co_ci_u32_e64 v1, s2, s5, v3, s2
	;; [unrolled: 13-line block ×3, first 2 shown]
	global_load_b32 v35, v[2:3], off
	v_add_co_u32 v2, s2, v0, s4
	s_wait_alu 0xf1ff
	v_add_co_ci_u32_e64 v3, s2, s5, v1, s2
	global_load_b32 v36, v[0:1], off
	v_add_co_u32 v0, s2, v2, s4
	s_wait_alu 0xf1ff
	v_add_co_ci_u32_e64 v1, s2, s5, v3, s2
	;; [unrolled: 4-line block ×3, first 2 shown]
	global_load_b32 v0, v[0:1], off
	global_load_b32 v1, v[2:3], off
	v_lshl_add_u32 v3, v42, 2, v43
	v_add_nc_u32_e32 v2, v43, v41
	s_delay_alu instid0(VALU_DEP_1)
	v_add_nc_u32_e32 v38, 0x200, v2
	v_add_nc_u32_e32 v39, 0x400, v2
	;; [unrolled: 1-line block ×5, first 2 shown]
	s_wait_loadcnt 0x21
	v_lshrrev_b32_e32 v46, 16, v4
	s_wait_loadcnt 0x20
	v_lshrrev_b32_e32 v47, 16, v5
	;; [unrolled: 2-line block ×16, first 2 shown]
	v_mul_f16_e32 v62, v46, v19
	s_wait_loadcnt 0x11
	v_lshrrev_b32_e32 v63, 16, v21
	s_wait_loadcnt 0x10
	v_lshrrev_b32_e32 v64, 16, v22
	;; [unrolled: 2-line block ×3, first 2 shown]
	v_mul_f16_e32 v46, v46, v59
	v_fma_f16 v59, v4, v59, -v62
	v_mul_f16_e32 v62, v47, v22
	s_delay_alu instid0(VALU_DEP_3)
	v_fmac_f16_e32 v46, v4, v19
	v_mul_f16_e32 v4, v47, v64
	s_wait_loadcnt 0xe
	v_lshrrev_b32_e32 v19, 16, v24
	v_mul_f16_e32 v47, v48, v24
	v_fma_f16 v62, v5, v64, -v62
	v_pack_b32_f16 v46, v46, v59
	v_fmac_f16_e32 v4, v5, v22
	v_mul_f16_e32 v5, v48, v19
	s_wait_loadcnt 0xd
	v_lshrrev_b32_e32 v22, 16, v25
	v_fma_f16 v19, v6, v19, -v47
	v_mul_f16_e32 v47, v49, v25
	ds_store_b32 v3, v46
	v_pack_b32_f16 v3, v4, v62
	v_fmac_f16_e32 v5, v6, v24
	v_mul_f16_e32 v4, v49, v22
	s_wait_loadcnt 0xc
	v_lshrrev_b32_e32 v6, 16, v26
	v_mul_f16_e32 v24, v50, v26
	v_fma_f16 v22, v7, v22, -v47
	v_pack_b32_f16 v5, v5, v19
	v_fmac_f16_e32 v4, v7, v25
	v_mul_f16_e32 v7, v50, v6
	s_wait_loadcnt 0xb
	v_lshrrev_b32_e32 v19, 16, v27
	v_fma_f16 v6, v8, v6, -v24
	v_mul_f16_e32 v24, v51, v27
	ds_store_2addr_b32 v2, v3, v5 offset0:70 offset1:140
	v_pack_b32_f16 v3, v4, v22
	v_fmac_f16_e32 v7, v8, v26
	v_mul_f16_e32 v4, v51, v19
	s_wait_loadcnt 0xa
	v_lshrrev_b32_e32 v5, 16, v28
	v_mul_f16_e32 v8, v52, v28
	v_fma_f16 v19, v9, v19, -v24
	v_pack_b32_f16 v6, v7, v6
	v_fmac_f16_e32 v4, v9, v27
	v_mul_f16_e32 v7, v52, v5
	v_fma_f16 v5, v10, v5, -v8
	s_wait_loadcnt 0x9
	v_lshrrev_b32_e32 v8, 16, v30
	v_mul_f16_e32 v9, v53, v30
	ds_store_2addr_b32 v38, v3, v6 offset0:82 offset1:152
	v_pack_b32_f16 v3, v4, v19
	v_fmac_f16_e32 v7, v10, v28
	v_mul_f16_e32 v4, v53, v8
	s_wait_loadcnt 0x8
	v_lshrrev_b32_e32 v6, 16, v31
	v_mul_f16_e32 v10, v54, v31
	v_fma_f16 v8, v11, v8, -v9
	v_pack_b32_f16 v5, v7, v5
	v_fmac_f16_e32 v4, v11, v30
	v_mul_f16_e32 v7, v54, v6
	s_wait_loadcnt 0x7
	v_lshrrev_b32_e32 v9, 16, v32
	v_fma_f16 v6, v12, v6, -v10
	v_mul_f16_e32 v10, v55, v32
	ds_store_2addr_b32 v39, v3, v5 offset0:94 offset1:164
	v_pack_b32_f16 v3, v4, v8
	v_fmac_f16_e32 v7, v12, v31
	v_mul_f16_e32 v4, v55, v9
	s_wait_loadcnt 0x6
	v_lshrrev_b32_e32 v5, 16, v33
	v_fma_f16 v8, v13, v9, -v10
	v_mul_f16_e32 v9, v56, v33
	v_pack_b32_f16 v6, v7, v6
	v_fmac_f16_e32 v4, v13, v32
	v_mul_f16_e32 v7, v56, v5
	s_wait_loadcnt 0x5
	v_lshrrev_b32_e32 v10, 16, v34
	v_mul_f16_e32 v11, v57, v34
	v_fma_f16 v5, v14, v5, -v9
	v_pack_b32_f16 v4, v4, v8
	v_fmac_f16_e32 v7, v14, v33
	v_mul_f16_e32 v8, v57, v10
	v_fma_f16 v9, v15, v10, -v11
	s_wait_loadcnt 0x4
	v_lshrrev_b32_e32 v10, 16, v35
	v_mul_f16_e32 v11, v58, v35
	v_pack_b32_f16 v5, v7, v5
	v_fmac_f16_e32 v8, v15, v34
	s_wait_loadcnt 0x3
	v_lshrrev_b32_e32 v7, 16, v36
	v_mul_f16_e32 v12, v58, v10
	v_fma_f16 v10, v16, v10, -v11
	v_mul_f16_e32 v11, v60, v36
	s_wait_loadcnt 0x2
	v_lshrrev_b32_e32 v13, 16, v37
	v_pack_b32_f16 v8, v8, v9
	v_mul_f16_e32 v9, v60, v7
	v_fmac_f16_e32 v12, v16, v35
	v_fma_f16 v7, v17, v7, -v11
	v_mul_f16_e32 v11, v61, v37
	s_wait_loadcnt 0x1
	v_lshrrev_b32_e32 v14, 16, v0
	s_wait_loadcnt 0x0
	v_lshrrev_b32_e32 v16, 16, v1
	v_mul_f16_e32 v15, v61, v13
	v_fmac_f16_e32 v9, v17, v36
	v_fma_f16 v11, v18, v13, -v11
	v_mul_f16_e32 v13, v63, v0
	v_mul_f16_e32 v17, v63, v14
	;; [unrolled: 1-line block ×4, first 2 shown]
	v_fmac_f16_e32 v15, v18, v37
	v_fma_f16 v13, v21, v14, -v13
	v_fmac_f16_e32 v17, v21, v0
	v_fma_f16 v0, v23, v16, -v19
	v_fmac_f16_e32 v22, v23, v1
	v_pack_b32_f16 v1, v12, v10
	v_pack_b32_f16 v7, v9, v7
	;; [unrolled: 1-line block ×5, first 2 shown]
	v_add_nc_u32_e32 v2, 0x1000, v2
	ds_store_2addr_b32 v40, v3, v6 offset0:106 offset1:176
	ds_store_2addr_b32 v44, v4, v5 offset0:118 offset1:188
	;; [unrolled: 1-line block ×5, first 2 shown]
.LBB0_3:
	s_or_b32 exec_lo, exec_lo, s3
	s_clause 0x1
	s_load_b64 s[4:5], s[0:1], 0x20
	s_load_b64 s[2:3], s[0:1], 0x8
	v_mov_b32_e32 v4, 0
                                        ; kill: def $vgpr0 killed $sgpr0 killed $exec
	global_wb scope:SCOPE_SE
	s_wait_dscnt 0x0
	s_wait_kmcnt 0x0
	s_barrier_signal -1
	s_barrier_wait -1
	global_inv scope:SCOPE_SE
                                        ; implicit-def: $vgpr16
                                        ; implicit-def: $vgpr1
                                        ; implicit-def: $vgpr3
                                        ; implicit-def: $vgpr7
                                        ; implicit-def: $vgpr9
                                        ; implicit-def: $vgpr11
                                        ; implicit-def: $vgpr15
                                        ; implicit-def: $vgpr13
                                        ; implicit-def: $vgpr39
	s_and_saveexec_b32 s0, vcc_lo
	s_cbranch_execz .LBB0_5
; %bb.4:
	v_lshl_add_u32 v16, v29, 2, v41
	ds_load_2addr_b32 v[4:5], v16 offset1:70
	ds_load_2addr_b32 v[12:13], v16 offset0:140 offset1:210
	v_add_nc_u32_e32 v0, 0x400, v16
	v_add_nc_u32_e32 v1, 0x800, v16
	;; [unrolled: 1-line block ×5, first 2 shown]
	ds_load_2addr_b32 v[14:15], v0 offset0:24 offset1:94
	ds_load_2addr_b32 v[10:11], v0 offset0:164 offset1:234
	;; [unrolled: 1-line block ×6, first 2 shown]
	ds_load_b32 v16, v16 offset:4480
	s_wait_dscnt 0x7
	v_alignbit_b32 v39, v12, v12, 16
.LBB0_5:
	s_wait_alu 0xfffe
	s_or_b32 exec_lo, exec_lo, s0
	s_wait_dscnt 0x0
	v_pk_add_f16 v12, v5, v16 neg_lo:[0,1] neg_hi:[0,1]
	v_pk_add_f16 v18, v16, v5
	v_pk_add_f16 v19, v39, v1 op_sel:[1,0] op_sel_hi:[0,1] neg_lo:[0,1] neg_hi:[0,1]
	v_lshrrev_b32_e32 v38, 16, v4
	v_pk_add_f16 v17, v1, v39 op_sel:[1,0] op_sel_hi:[0,1]
	v_lshrrev_b32_e32 v106, 16, v12
	v_lshrrev_b32_e32 v61, 16, v18
	v_mul_f16_e32 v51, 0xb964, v12
	v_mul_f16_e32 v63, 0xbb29, v12
	v_lshrrev_b32_e32 v105, 16, v19
	v_mul_f16_e32 v33, 0xb5c8, v106
	v_mul_f16_e32 v58, 0xbb29, v106
	v_fma_f16 v23, v61, 0x39e9, -v51
	v_lshrrev_b32_e32 v60, 16, v17
	v_mul_f16_e32 v34, 0xb964, v105
	v_fmamk_f16 v22, v18, 0x3b76, v33
	v_fmamk_f16 v24, v18, 0x3722, v58
	v_fma_f16 v25, v61, 0x3722, -v63
	v_add_f16_e32 v27, v23, v38
	v_pk_add_f16 v23, v13, v0 neg_lo:[0,1] neg_hi:[0,1]
	v_mul_f16_e32 v62, 0xba62, v105
	v_mul_f16_e32 v73, 0xba62, v19
	v_add_f16_e32 v22, v22, v4
	v_fmamk_f16 v26, v60, 0x39e9, v34
	v_add_f16_e32 v30, v24, v4
	v_add_f16_e32 v25, v25, v38
	v_mul_f16_e32 v56, 0xbbf7, v19
	v_lshrrev_b32_e32 v108, 16, v23
	v_fmamk_f16 v32, v60, 0xb8d2, v62
	v_fma_f16 v35, v17, 0xb8d2, -v73
	v_add_f16_e32 v22, v26, v22
	v_fma_f16 v26, v17, 0x2de8, -v56
	v_pk_add_f16 v24, v0, v13
	v_mul_f16_e32 v37, 0xbb29, v108
	v_add_f16_e32 v30, v32, v30
	v_add_f16_e32 v32, v35, v25
	v_pk_add_f16 v25, v14, v3 neg_lo:[0,1] neg_hi:[0,1]
	v_add_f16_e32 v27, v26, v27
	v_fmamk_f16 v26, v24, 0x3722, v37
	v_mul_f16_e32 v65, 0x31e1, v108
	v_lshrrev_b32_e32 v64, 16, v24
	v_lshrrev_b32_e32 v110, 16, v25
	v_mul_f16_e32 v54, 0xba62, v23
	v_add_f16_e32 v22, v26, v22
	v_fmamk_f16 v45, v24, 0xbbdd, v65
	v_pk_add_f16 v26, v3, v14
	v_mul_f16_e32 v44, 0xbbf7, v110
	v_pk_mul_f16 v21, 0x3b7639e9, v18
	v_fma_f16 v35, v64, 0xb8d2, -v54
	v_add_f16_e32 v30, v45, v30
	v_lshrrev_b32_e32 v70, 16, v26
	v_fmamk_f16 v45, v26, 0x2de8, v44
	v_mul_f16_e32 v59, 0xb1e1, v25
	v_pk_fma_f16 v28, 0xb964b5c8, v12, v21 op_sel:[0,0,1] op_sel_hi:[1,1,0]
	v_pk_mul_f16 v31, 0xbbf7b964, v19
	v_mul_f16_e32 v75, 0x31e1, v23
	v_add_f16_e32 v47, v35, v27
	v_add_f16_e32 v22, v45, v22
	v_fma_f16 v45, v70, 0xbbdd, -v59
	v_pk_fma_f16 v36, 0x2de839e9, v17, v31
	v_pk_mul_f16 v46, 0x3722b8d2, v24
	v_fma_f16 v35, v64, 0xbbdd, -v75
	v_pk_add_f16 v27, v15, v2 neg_lo:[0,1] neg_hi:[0,1]
	v_add_f16_e32 v47, v45, v47
	v_lshrrev_b32_e32 v45, 16, v28
	v_pk_fma_f16 v40, 0xba62bb29, v23, v46 op_sel:[0,0,1] op_sel_hi:[1,1,0]
	v_add_f16_e32 v48, v35, v32
	v_pk_mul_f16 v83, 0x2de8bbdd, v26
	v_lshrrev_b32_e32 v111, 16, v27
	v_pk_add_f16 v32, v10, v7 neg_lo:[0,1] neg_hi:[0,1]
	v_pk_add_f16 v35, v2, v15
	v_add_f16_e32 v45, v45, v4
	v_lshrrev_b32_e32 v52, 16, v36
	v_pk_fma_f16 v55, 0xb1e1bbf7, v25, v83 op_sel:[0,0,1] op_sel_hi:[1,1,0]
	v_mul_f16_e32 v57, 0xbbb2, v111
	v_lshrrev_b32_e32 v112, 16, v32
	v_pk_add_f16 v50, v7, v10
	v_pk_mul_f16 v84, 0xb461bacd, v35
	v_add_f16_e32 v52, v52, v45
	v_lshrrev_b32_e32 v53, 16, v40
	v_fmamk_f16 v49, v35, 0xb461, v57
	v_mul_f16_e32 v66, 0xba62, v112
	v_pk_fma_f16 v67, 0x3836bbb2, v27, v84 op_sel:[0,0,1] op_sel_hi:[1,1,0]
	v_pk_mul_f16 v85, 0xb8d2b461, v50
	v_add_f16_e32 v53, v53, v52
	v_lshrrev_b32_e32 v69, 16, v55
	v_pk_add_f16 v52, v6, v11
	v_add_f16_e32 v22, v49, v22
	v_fmamk_f16 v49, v50, 0xb8d2, v66
	v_pk_add_f16 v45, v11, v6 neg_lo:[0,1] neg_hi:[0,1]
	v_pk_fma_f16 v68, 0x3bb2ba62, v32, v85 op_sel:[0,0,1] op_sel_hi:[1,1,0]
	v_add_f16_e32 v71, v69, v53
	v_lshrrev_b32_e32 v72, 16, v67
	v_pk_mul_f16 v86, 0xbacd3722, v52
	v_add_f16_e32 v22, v49, v22
	v_lshrrev_b32_e32 v122, 16, v45
	v_pk_add_f16 v49, v8, v9 neg_lo:[0,1] neg_hi:[0,1]
	v_add_f16_e32 v74, v72, v71
	v_lshrrev_b32_e32 v76, 16, v68
	v_pk_fma_f16 v71, 0x3b29b836, v45, v86 op_sel:[0,0,1] op_sel_hi:[1,1,0]
	v_mul_f16_e32 v79, 0x3bb2, v110
	v_mul_f16_e32 v93, 0x3bb2, v25
	;; [unrolled: 1-line block ×3, first 2 shown]
	v_lshrrev_b32_e32 v113, 16, v49
	v_add_f16_e32 v78, v76, v74
	v_lshrrev_b32_e32 v80, 16, v71
	v_pk_add_f16 v53, v9, v8
	v_fmamk_f16 v77, v52, 0xbacd, v69
	v_mul_f16_e32 v72, 0xb1e1, v113
	v_fmamk_f16 v81, v26, 0xb461, v79
	v_lshrrev_b32_e32 v94, 16, v35
	v_mul_f16_e32 v76, 0x3836, v27
	v_add_f16_e32 v98, v80, v78
	v_fma_f16 v78, v70, 0xb461, -v93
	v_mul_f16_e32 v90, 0x3964, v111
	v_add_f16_e32 v22, v77, v22
	v_fmamk_f16 v77, v53, 0xbbdd, v72
	v_fma_f16 v80, v94, 0xbacd, -v76
	v_add_f16_e32 v30, v81, v30
	v_add_f16_e32 v48, v78, v48
	v_mul_f16_e32 v100, 0x3964, v27
	v_fmamk_f16 v78, v35, 0x39e9, v90
	v_add_f16_e32 v22, v77, v22
	v_add_f16_e32 v47, v80, v47
	v_lshrrev_b32_e32 v96, 16, v50
	v_mul_f16_e32 v77, 0x3bb2, v32
	v_fma_f16 v80, v94, 0x39e9, -v100
	v_add_f16_e32 v30, v78, v30
	v_pk_fma_f16 v78, 0xb964b5c8, v12, v21 op_sel:[0,0,1] op_sel_hi:[1,1,0] neg_lo:[0,1,0] neg_hi:[0,1,0]
	v_mul_f16_e32 v81, 0xb5c8, v112
	v_fma_f16 v82, v96, 0xb461, -v77
	v_add_f16_e32 v48, v80, v48
	v_pk_fma_f16 v80, 0x2de839e9, v17, v31 neg_lo:[0,0,1] neg_hi:[0,0,1]
	v_add_f16_e32 v31, v78, v38
	v_mul_f16_e32 v102, 0xb5c8, v32
	v_fmamk_f16 v87, v50, 0x3b76, v81
	v_add_f16_e32 v47, v82, v47
	v_pk_fma_f16 v82, 0xba62bb29, v23, v46 op_sel:[0,0,1] op_sel_hi:[1,1,0] neg_lo:[0,1,0] neg_hi:[0,1,0]
	v_add_f16_e32 v31, v80, v31
	v_fma_f16 v21, v96, 0x3b76, -v102
	v_add_f16_e32 v30, v87, v30
	v_lshrrev_b32_e32 v99, 16, v52
	v_mul_f16_e32 v87, 0x3b29, v45
	v_mul_f16_e32 v103, 0xbbf7, v45
	v_pk_fma_f16 v83, 0xb1e1bbf7, v25, v83 op_sel:[0,0,1] op_sel_hi:[1,1,0] neg_lo:[0,1,0] neg_hi:[0,1,0]
	v_add_f16_e32 v31, v82, v31
	v_add_f16_e32 v21, v21, v48
	v_fma_f16 v46, v99, 0x3722, -v87
	v_fma_f16 v89, v99, 0x2de8, -v103
	v_pk_fma_f16 v84, 0x3836bbb2, v27, v84 op_sel:[0,0,1] op_sel_hi:[1,1,0] neg_lo:[0,1,0] neg_hi:[0,1,0]
	v_add_f16_e32 v31, v83, v31
	v_pk_mul_f16 v88, 0xbbdd3b76, v53
	v_mul_f16_e32 v91, 0xbbf7, v122
	v_add_f16_e32 v46, v46, v47
	v_add_f16_e32 v47, v89, v21
	v_pk_fma_f16 v85, 0x3bb2ba62, v32, v85 op_sel:[0,0,1] op_sel_hi:[1,1,0] neg_lo:[0,1,0] neg_hi:[0,1,0]
	v_add_f16_e32 v21, v84, v31
	v_pk_fma_f16 v74, 0x35c8b1e1, v49, v88 op_sel:[0,0,1] op_sel_hi:[1,1,0]
	v_fmamk_f16 v48, v52, 0x2de8, v91
	v_lshrrev_b32_e32 v97, 16, v53
	v_mul_f16_e32 v89, 0x35c8, v49
	v_mul_f16_e32 v92, 0xb836, v113
	v_mul_f16_e32 v95, 0xb836, v49
	v_pk_fma_f16 v86, 0x3b29b836, v45, v86 op_sel:[0,0,1] op_sel_hi:[1,1,0] neg_lo:[0,1,0] neg_hi:[0,1,0]
	v_add_f16_e32 v21, v85, v21
	v_lshrrev_b32_e32 v101, 16, v74
	v_add_f16_e32 v30, v48, v30
	v_fma_f16 v31, v97, 0x3b76, -v89
	v_fmamk_f16 v104, v53, 0xbacd, v92
	v_fma_f16 v107, v97, 0xbacd, -v95
	v_pk_fma_f16 v88, 0x35c8b1e1, v49, v88 op_sel:[0,0,1] op_sel_hi:[1,1,0] neg_lo:[0,1,0] neg_hi:[0,1,0]
	v_add_f16_e32 v109, v86, v21
	v_add_f16_e32 v21, v101, v98
	;; [unrolled: 1-line block ×6, first 2 shown]
	v_mul_lo_u16 v46, v42, 17
	global_wb scope:SCOPE_SE
	s_barrier_signal -1
	s_barrier_wait -1
	global_inv scope:SCOPE_SE
	s_and_saveexec_b32 s0, vcc_lo
	s_cbranch_execz .LBB0_7
; %bb.6:
	v_mul_f16_e32 v119, 0x2de8, v61
	v_mul_f16_e32 v115, 0xbbf7, v106
	;; [unrolled: 1-line block ×5, first 2 shown]
	v_fmamk_f16 v98, v12, 0x3bf7, v119
	v_fmamk_f16 v101, v18, 0x2de8, v115
	v_mul_f16_e32 v117, 0x3bb2, v108
	v_fmamk_f16 v104, v19, 0x31e1, v124
	v_fmamk_f16 v107, v60, 0xbbdd, v114
	v_add_f16_e32 v98, v98, v38
	v_add_f16_e32 v101, v101, v4
	v_mul_f16_e32 v123, 0x3b76, v70
	v_mul_f16_e32 v116, 0x35c8, v110
	v_fmamk_f16 v109, v23, 0xbbb2, v120
	v_add_f16_e32 v98, v104, v98
	v_fmamk_f16 v104, v24, 0xb461, v117
	v_add_f16_e32 v101, v107, v101
	v_mul_f16_e32 v125, 0x3722, v94
	v_fmamk_f16 v107, v25, 0xb5c8, v123
	v_add_f16_e32 v98, v109, v98
	v_mul_f16_e32 v118, 0xbb29, v111
	v_fmamk_f16 v109, v26, 0x3b76, v116
	v_add_f16_e32 v101, v104, v101
	v_fmamk_f16 v104, v27, 0x3b29, v125
	v_add_f16_e32 v98, v107, v98
	v_mul_f16_e32 v126, 0xbacd, v96
	v_fmamk_f16 v107, v35, 0x3722, v118
	v_add_f16_e32 v101, v109, v101
	v_mul_f16_e32 v121, 0xb836, v112
	v_add_f16_e32 v98, v104, v98
	v_fmamk_f16 v104, v32, 0x3836, v126
	v_mul_f16_e64 v128, 0xb8d2, v99
	v_add_f16_e32 v101, v107, v101
	v_fmamk_f16 v107, v50, 0xbacd, v121
	v_mul_f16_e32 v127, 0xb461, v61
	v_add_f16_e32 v98, v104, v98
	v_mul_f16_e64 v130, 0x3a62, v122
	v_mul_f16_e64 v129, 0xbacd, v17
	v_add_f16_e32 v101, v107, v101
	v_fma_f16 v107, 0xba62, v45, v128
	v_fmamk_f16 v104, v12, 0x3bb2, v127
	v_mul_f16_e64 v132, 0x39e9, v97
	v_fma_f16 v109, 0xb836, v19, v129
	v_mul_f16_e64 v131, 0x39e9, v64
	v_add_f16_e32 v98, v107, v98
	v_fma_f16 v107, 0xb8d2, v52, v130
	v_add_f16_e32 v104, v104, v38
	v_mul_f16_e64 v134, 0x3964, v113
	v_mul_f16_e64 v133, 0x3722, v70
	;; [unrolled: 1-line block ×3, first 2 shown]
	v_add_f16_e32 v101, v107, v101
	v_fma_f16 v107, 0xb964, v49, v132
	v_add_f16_e32 v104, v109, v104
	v_fma_f16 v109, 0xb964, v23, v131
	v_mul_f16_e64 v135, 0xbbdd, v94
	v_mul_f16_e64 v138, 0x3836, v105
	v_add_f16_e32 v98, v107, v98
	v_fma_f16 v107, 0x39e9, v53, v134
	v_add_f16_e32 v104, v109, v104
	v_fma_f16 v109, 0x3b29, v25, v133
	v_mul_f16_e64 v137, 0x2de8, v96
	v_fma_f16 v140, 0xbacd, v60, v138
	v_add_f16_e32 v101, v107, v101
	v_fma_f16 v107, 0xb461, v18, v136
	v_add_f16_e32 v104, v109, v104
	v_fma_f16 v109, 0x31e1, v27, v135
	v_mul_f16_e64 v141, 0x3964, v108
	v_mul_f16_e64 v139, 0x3b76, v99
	v_add_f16_e32 v107, v107, v4
	v_mul_f16_e64 v143, 0xbb29, v110
	v_add_f16_e32 v104, v109, v104
	v_fma_f16 v109, 0xbbf7, v32, v137
	v_mul_f16_e64 v142, 0xb8d2, v97
	v_add_f16_e64 v107, v140, v107
	v_fma_f16 v140, 0x39e9, v24, v141
	v_mul_f16_e64 v145, 0xb1e1, v111
	v_add_f16_e32 v104, v109, v104
	v_fma_f16 v109, 0x35c8, v45, v139
	v_mul_f16_e64 v144, 0xb8d2, v61
	v_add_f16_e64 v107, v140, v107
	v_fma_f16 v140, 0x3722, v26, v143
	;; [unrolled: 6-line block ×3, first 2 shown]
	v_mul_f16_e64 v150, 0xb5c8, v122
	v_add_f16_e32 v104, v109, v104
	v_fma_f16 v109, 0x3a62, v12, v144
	v_fma_f16 v148, 0xbbb2, v19, v146
	v_add_f16_e64 v107, v140, v107
	v_fma_f16 v140, 0x2de8, v50, v147
	v_mul_f16_e64 v149, 0x3b76, v64
	v_add_f16_e32 v109, v109, v38
	v_mul_f16_e64 v152, 0xba62, v113
	v_mul_f16_e64 v151, 0xbacd, v70
	v_add_f16_e64 v107, v140, v107
	v_fma_f16 v140, 0x3b76, v52, v150
	v_add_f16_e64 v109, v148, v109
	v_fma_f16 v148, 0x35c8, v23, v149
	v_mul_f16_e64 v154, 0xba62, v106
	v_mul_f16_e64 v153, 0x2de8, v94
	v_add_f16_e64 v107, v140, v107
	v_fma_f16 v140, 0xb8d2, v53, v152
	v_add_f16_e64 v109, v148, v109
	v_fma_f16 v148, 0x3836, v25, v151
	;; [unrolled: 6-line block ×3, first 2 shown]
	v_fma_f16 v158, 0xb461, v60, v156
	v_mul_f16_e64 v159, 0xb5c8, v108
	v_add_f16_e64 v140, v140, v4
	v_mul_f16_e64 v157, 0xbbdd, v99
	v_add_f16_e64 v109, v148, v109
	v_fma_f16 v148, 0x3964, v32, v155
	v_mul_f16_e64 v161, 0xb836, v110
	v_add_f16_e64 v140, v158, v140
	v_fma_f16 v158, 0x3b76, v24, v159
	;; [unrolled: 3-line block ×8, first 2 shown]
	v_fma_f16 v166, 0xbb29, v19, v164
	v_add_f16_e64 v148, v148, v38
	v_mul_f16_e64 v167, 0x2de8, v64
	v_mul_f16_e64 v170, 0xb836, v106
	v_add_f16_e64 v140, v158, v140
	v_fma_f16 v158, 0xbbdd, v52, v168
	v_add_f16_e64 v148, v166, v148
	v_fma_f16 v166, 0x3bf7, v23, v167
	v_mul_f16_e64 v169, 0xb8d2, v70
	v_mul_f16_e64 v171, 0x3b29, v105
	v_add_f16_e64 v140, v158, v140
	v_fma_f16 v158, 0xbacd, v18, v170
	v_add_f16_e64 v106, v166, v148
	v_fma_f16 v148, 0xba62, v25, v169
	v_mul_f16_e64 v166, 0x3b76, v94
	v_fma_f16 v172, 0x3722, v60, v171
	v_add_f16_e64 v158, v158, v4
	v_mul_f16_e32 v108, 0xbbf7, v108
	v_add_f16_e64 v105, v148, v106
	v_fma_f16 v106, 0x35c8, v27, v166
	v_mul_f16_e64 v148, 0xbbdd, v96
	v_add_f16_e64 v158, v172, v158
	v_fma_f16 v172, 0x2de8, v24, v108
	v_mul_f16_e32 v110, 0x3a62, v110
	v_add_f16_e32 v105, v106, v105
	v_fma_f16 v106, 0x31e1, v32, v148
	v_mul_f16_e64 v173, 0x39e9, v99
	v_mul_f16_e64 v174, 0x3b29, v113
	v_add_f16_e64 v158, v172, v158
	v_fma_f16 v172, 0xb8d2, v26, v110
	v_mul_f16_e32 v111, 0xb5c8, v111
	v_add_f16_e32 v105, v106, v105
	v_fma_f16 v106, 0xb964, v45, v173
	v_fma_f16 v175, 0x3722, v53, v174
	v_add_f16_e64 v158, v172, v158
	v_fma_f16 v172, 0x3b76, v35, v111
	v_mul_f16_e32 v112, 0xb1e1, v112
	v_fmac_f16_e64 v162, 0xb836, v12
	v_add_f16_e32 v106, v106, v105
	v_add_f16_e64 v105, v175, v140
	v_add_f16_e64 v140, v172, v158
	v_fma_f16 v158, 0xbbdd, v50, v112
	v_add_f16_e64 v162, v162, v38
	v_fmac_f16_e64 v164, 0x3b29, v19
	v_fmac_f16_e64 v167, 0xbbf7, v23
	;; [unrolled: 1-line block ×3, first 2 shown]
	v_add_f16_e64 v140, v158, v140
	v_fma_f16 v158, v18, 0xbacd, -v170
	v_add_f16_e64 v162, v164, v162
	v_fma_f16 v164, v60, 0x3722, -v171
	v_fma_f16 v108, v24, 0x2de8, -v108
	v_fmac_f16_e64 v144, 0xba62, v12
	v_add_f16_e64 v158, v158, v4
	v_add_f16_e64 v162, v167, v162
	v_fmac_f16_e64 v166, 0xb5c8, v27
	v_fma_f16 v110, v26, 0xb8d2, -v110
	v_add_f16_e64 v144, v144, v38
	v_add_f16_e64 v158, v164, v158
	v_add_f16_e64 v162, v169, v162
	v_fmac_f16_e64 v146, 0x3bb2, v19
	v_fmac_f16_e64 v148, 0xb1e1, v32
	;; [unrolled: 1-line block ×3, first 2 shown]
	v_add_f16_e64 v108, v108, v158
	v_add_f16_e64 v158, v166, v162
	v_fmac_f16_e64 v173, 0x3964, v45
	v_mul_f16_e32 v122, 0x3964, v122
	v_fmac_f16_e64 v151, 0xb836, v25
	v_add_f16_e32 v108, v110, v108
	v_fma_f16 v110, v35, 0x3b76, -v111
	v_add_f16_e64 v111, v146, v144
	v_add_f16_e64 v144, v148, v158
	v_fma_f16 v170, 0x39e9, v52, v122
	v_mul_f16_e32 v113, 0xbbb2, v113
	v_add_f16_e32 v108, v110, v108
	v_fma_f16 v110, v50, 0xbbdd, -v112
	v_add_f16_e64 v111, v149, v111
	v_add_f16_e64 v112, v173, v144
	v_fma_f16 v144, v18, 0xb8d2, -v154
	v_add_f16_e64 v140, v170, v140
	v_add_f16_e32 v108, v110, v108
	v_add_f16_e64 v110, v151, v111
	v_fma_f16 v111, v52, 0x39e9, -v122
	v_add_f16_e64 v122, v144, v4
	v_fma_f16 v144, v60, 0xb461, -v156
	v_fma_f16 v170, 0xb461, v53, v113
	v_fma_f16 v113, v53, 0xb461, -v113
	v_add_f16_e32 v108, v111, v108
	v_fmac_f16_e32 v127, 0xbbb2, v12
	v_add_f16_e64 v111, v144, v122
	v_fma_f16 v122, v24, 0x3b76, -v159
	v_fmac_f16_e64 v129, 0x3836, v19
	v_add_f16_e32 v108, v113, v108
	v_add_f16_e32 v113, v127, v38
	v_fma_f16 v127, v18, 0xb461, -v136
	v_add_f16_e32 v111, v122, v111
	v_fma_f16 v122, v26, 0xbacd, -v161
	v_fmac_f16_e32 v119, 0xbbf7, v12
	v_add_f16_e64 v113, v129, v113
	v_add_f16_e32 v127, v127, v4
	v_fma_f16 v129, v60, 0xbacd, -v138
	v_add_f16_e32 v111, v122, v111
	v_fma_f16 v122, v35, 0x2de8, -v163
	v_add_f16_e32 v119, v119, v38
	v_fmac_f16_e32 v124, 0xb1e1, v19
	v_add_f16_e64 v127, v129, v127
	v_fma_f16 v129, v24, 0x39e9, -v141
	v_add_f16_e32 v111, v122, v111
	v_fma_f16 v122, v50, 0x39e9, -v165
	v_add_f16_e32 v119, v124, v119
	v_fmac_f16_e32 v120, 0x3bb2, v23
	v_fma_f16 v115, v18, 0x2de8, -v115
	v_fmac_f16_e32 v123, 0x35c8, v25
	v_add_f16_e32 v111, v122, v111
	v_fma_f16 v122, v52, 0xbbdd, -v168
	v_add_f16_e32 v119, v120, v119
	v_add_f16_e32 v115, v115, v4
	v_fma_f16 v114, v60, 0xbbdd, -v114
	v_fma_f16 v124, v52, 0x3b76, -v150
	v_add_f16_e32 v111, v122, v111
	v_add_f16_e64 v122, v129, v127
	v_fma_f16 v127, v26, 0x3722, -v143
	v_add_f16_e32 v119, v123, v119
	v_fmac_f16_e32 v125, 0xbb29, v27
	v_add_f16_e32 v114, v114, v115
	v_fma_f16 v115, v24, 0xb461, -v117
	v_add_f16_e32 v122, v127, v122
	v_fma_f16 v127, v35, 0xbbdd, -v145
	v_add_f16_e32 v117, v125, v119
	v_fmac_f16_e32 v126, 0xb836, v32
	v_add_f16_e32 v114, v115, v114
	v_mul_f16_e32 v115, 0x3722, v61
	v_add_f16_e32 v122, v127, v122
	v_fma_f16 v127, v50, 0x2de8, -v147
	v_fma_f16 v116, v26, 0x3b76, -v116
	v_add_f16_e32 v117, v126, v117
	v_fmac_f16_e64 v128, 0x3a62, v45
	v_add_f16_e32 v63, v63, v115
	v_add_f16_e32 v122, v127, v122
	;; [unrolled: 1-line block ×3, first 2 shown]
	v_fma_f16 v115, v35, 0x3722, -v118
	v_add_f16_e64 v116, v128, v117
	v_add_f16_e32 v63, v63, v38
	v_add_f16_e32 v120, v124, v122
	v_fma_f16 v122, v53, 0xb8d2, -v152
	v_mul_f16_e32 v117, 0xbbdd, v64
	v_add_f16_e32 v114, v115, v114
	v_fma_f16 v115, v50, 0xbacd, -v121
	v_alignbit_b32 v39, v39, v39, 16
	v_add_f16_e32 v119, v122, v120
	v_mul_f16_e32 v120, 0xb8d2, v17
	v_mul_f16_e32 v61, 0x39e9, v61
	v_add_f16_e32 v114, v115, v114
	v_fma_f16 v115, v52, 0xb8d2, -v130
	v_mul_f16_e32 v64, 0xb8d2, v64
	v_add_f16_e32 v73, v73, v120
	v_add_f16_e32 v51, v51, v61
	v_mul_f16_e32 v61, 0xbacd, v52
	v_mul_f16_e64 v176, 0xb461, v97
	v_fmac_f16_e64 v131, 0x3964, v23
	v_add_f16_e32 v63, v73, v63
	v_add_f16_e32 v73, v75, v117
	v_mul_f16_e32 v75, 0xb461, v70
	v_add_f16_e32 v38, v51, v38
	v_mul_f16_e32 v70, 0xbbdd, v70
	v_mul_f16_e32 v51, 0xbbdd, v53
	v_add_f16_e32 v63, v73, v63
	v_add_f16_e32 v73, v93, v75
	v_alignbit_b32 v75, v4, v4, 16
	v_add_f16_e32 v93, v115, v114
	v_mul_f16_e32 v114, 0x39e9, v94
	v_fma_f16 v115, v53, 0x39e9, -v134
	v_add_f16_e32 v63, v73, v63
	v_pk_add_f16 v5, v5, v75 op_sel:[0,1] op_sel_hi:[1,0]
	v_mul_f16_e32 v73, 0x3b76, v18
	v_add_f16_e32 v100, v100, v114
	v_mul_f16_e32 v114, 0x3b76, v96
	v_add_f16_e32 v93, v115, v93
	v_pk_add_f16 v5, v39, v5
	v_mul_f16_e32 v115, 0x3722, v18
	v_add_f16_e32 v63, v100, v63
	v_add_f16_e32 v102, v102, v114
	v_mul_f16_e32 v114, 0x2de8, v17
	v_pk_add_f16 v5, v13, v5
	v_mul_f16_e32 v100, 0x39e9, v60
	v_sub_f16_e32 v58, v115, v58
	v_add_f16_e32 v39, v54, v64
	v_add_f16_e32 v56, v56, v114
	v_pk_add_f16 v5, v14, v5
	v_sub_f16_e32 v14, v73, v33
	v_mul_f16_e32 v60, 0xb8d2, v60
	v_mul_f16_e32 v115, 0x3722, v24
	v_add_f16_e32 v38, v56, v38
	v_pk_add_f16 v5, v15, v5
	v_add_f16_e32 v63, v102, v63
	v_mul_f16_e32 v102, 0x2de8, v99
	v_add_f16_e32 v58, v58, v4
	v_mul_f16_e32 v94, 0xbacd, v94
	v_pk_add_f16 v5, v10, v5
	v_add_f16_e32 v13, v39, v38
	v_add_f16_e32 v38, v59, v70
	;; [unrolled: 1-line block ×3, first 2 shown]
	v_sub_f16_e32 v14, v100, v34
	v_pk_add_f16 v5, v11, v5
	v_sub_f16_e32 v60, v60, v62
	v_mul_f16_e32 v62, 0xbbdd, v24
	v_add_f16_e32 v102, v103, v102
	v_mul_f16_e32 v103, 0x2de8, v26
	v_pk_add_f16 v5, v8, v5
	v_mul_f16_e32 v96, 0xb461, v96
	v_add_f16_e32 v13, v38, v13
	v_add_f16_e32 v33, v76, v94
	;; [unrolled: 1-line block ×3, first 2 shown]
	v_sub_f16_e32 v14, v115, v37
	v_pk_add_f16 v5, v9, v5
	v_add_f16_e32 v58, v60, v58
	v_sub_f16_e32 v62, v62, v65
	v_mul_f16_e32 v65, 0xb461, v35
	v_add_f16_e32 v63, v102, v63
	v_mul_f16_e32 v102, 0x39e9, v35
	v_mul_f16_e32 v99, 0x3722, v99
	v_add_f16_e32 v13, v33, v13
	v_add_f16_e32 v15, v77, v96
	;; [unrolled: 1-line block ×3, first 2 shown]
	v_sub_f16_e32 v14, v103, v44
	v_pk_add_f16 v5, v6, v5
	v_add_f16_e32 v58, v62, v58
	v_mul_f16_e32 v62, 0xb8d2, v50
	v_sub_f16_e32 v90, v102, v90
	v_mul_f16_e32 v102, 0x3b76, v97
	v_add_f16_e32 v13, v15, v13
	v_add_f16_e32 v11, v87, v99
	;; [unrolled: 1-line block ×3, first 2 shown]
	v_sub_f16_e32 v9, v65, v57
	v_pk_add_f16 v5, v7, v5
	v_mul_f16_e32 v60, 0xb461, v26
	v_add_f16_e32 v8, v11, v13
	v_add_f16_e32 v11, v89, v102
	;; [unrolled: 1-line block ×3, first 2 shown]
	v_sub_f16_e32 v6, v62, v66
	v_pk_add_f16 v2, v2, v5
	v_sub_f16_e32 v60, v60, v79
	v_add_f16_e32 v8, v11, v8
	v_bfi_b32 v11, 0xffff, v28, v78
	v_add_f16_e32 v4, v6, v4
	v_sub_f16_e32 v6, v61, v69
	v_pk_add_f16 v2, v3, v2
	v_mul_f16_e32 v79, 0x3b76, v50
	v_add_f16_e32 v58, v60, v58
	v_mul_f16_e32 v97, 0xbacd, v97
	v_bfi_b32 v13, 0xffff, v36, v80
	v_add_f16_e32 v4, v6, v4
	v_sub_f16_e32 v6, v51, v72
	v_and_b32_e32 v3, 0xffff, v46
	v_pk_add_f16 v11, v11, v75
	v_pk_mul_f16 v18, 0xbbdd, v18 op_sel_hi:[0,1]
	v_pk_add_f16 v0, v0, v2
	v_mul_f16_e32 v60, 0x2de8, v52
	v_add_f16_e32 v54, v95, v97
	v_add_f16_e32 v58, v90, v58
	v_sub_f16_e32 v64, v79, v81
	v_bfi_b32 v9, 0xffff, v40, v82
	v_add_f16_e32 v4, v6, v4
	v_add_lshl_u32 v2, v29, v3, 2
	v_pk_add_f16 v3, v13, v11
	v_pk_fma_f16 v6, 0xb1e1, v12, v18 op_sel:[0,0,1] op_sel_hi:[0,1,0] neg_lo:[0,1,0] neg_hi:[0,1,0]
	v_pk_mul_f16 v11, 0x35c8, v19 op_sel_hi:[0,1]
	v_pk_add_f16 v0, v1, v0
	v_pk_fma_f16 v1, 0xb1e1, v12, v18 op_sel:[0,0,1] op_sel_hi:[0,1,0]
	v_mul_f16_e32 v56, 0xbacd, v53
	v_add_f16_e32 v39, v54, v63
	v_add_f16_e32 v54, v64, v58
	v_sub_f16_e32 v38, v60, v91
	v_bfi_b32 v14, 0xffff, v55, v83
	v_pk_add_f16 v3, v9, v3
	v_pk_add_f16 v6, v6, v75
	v_pk_fma_f16 v9, 0x3b76, v17, v11 op_sel_hi:[0,1,1] neg_lo:[0,0,1] neg_hi:[0,0,1]
	v_pk_mul_f16 v12, 0xbacd, v24 op_sel_hi:[0,1]
	v_pk_add_f16 v1, v1, v75
	v_pk_fma_f16 v11, 0x3b76, v17, v11 op_sel_hi:[0,1,1]
	v_add_f16_e32 v10, v38, v54
	v_sub_f16_e32 v15, v56, v92
	v_bfi_b32 v7, 0xffff, v67, v84
	v_pk_add_f16 v3, v14, v3
	v_pk_add_f16 v6, v9, v6
	v_pk_fma_f16 v9, 0xb836, v23, v12 op_sel:[0,0,1] op_sel_hi:[0,1,0] neg_lo:[0,1,0] neg_hi:[0,1,0]
	v_pk_mul_f16 v13, 0x39e9, v26 op_sel_hi:[0,1]
	v_pk_add_f16 v1, v11, v1
	v_pk_fma_f16 v11, 0xb836, v23, v12 op_sel:[0,0,1] op_sel_hi:[0,1,0]
	v_add_f16_e64 v113, v131, v113
	v_fmac_f16_e64 v133, 0xbb29, v25
	v_add_f16_e32 v10, v15, v10
	v_bfi_b32 v15, 0xffff, v68, v85
	v_pk_add_f16 v3, v7, v3
	v_pk_add_f16 v6, v9, v6
	v_pk_fma_f16 v7, 0x3964, v25, v13 op_sel:[0,0,1] op_sel_hi:[0,1,0] neg_lo:[0,1,0] neg_hi:[0,1,0]
	v_pk_mul_f16 v9, 0xb8d2, v35 op_sel_hi:[0,1]
	v_pk_add_f16 v1, v11, v1
	v_pk_fma_f16 v11, 0x3964, v25, v13 op_sel:[0,0,1] op_sel_hi:[0,1,0]
	v_fmac_f16_e64 v153, 0x3bf7, v27
	v_add_f16_e64 v113, v133, v113
	v_fmac_f16_e64 v135, 0xb1e1, v27
	v_bfi_b32 v5, 0xffff, v71, v86
	v_pk_add_f16 v3, v15, v3
	v_pk_add_f16 v6, v7, v6
	v_pk_fma_f16 v7, 0xba62, v27, v9 op_sel:[0,0,1] op_sel_hi:[0,1,0] neg_lo:[0,1,0] neg_hi:[0,1,0]
	v_pk_mul_f16 v12, 0x3722, v50 op_sel_hi:[0,1]
	v_pk_add_f16 v1, v11, v1
	v_pk_fma_f16 v9, 0xba62, v27, v9 op_sel:[0,0,1] op_sel_hi:[0,1,0]
	v_add_f16_e64 v110, v153, v110
	v_fmac_f16_e64 v155, 0xb964, v32
	v_add_f16_e64 v113, v135, v113
	v_fmac_f16_e64 v137, 0x3bf7, v32
	v_pk_add_f16 v3, v5, v3
	v_pk_add_f16 v5, v7, v6
	v_pk_fma_f16 v6, 0x3b29, v32, v12 op_sel:[0,0,1] op_sel_hi:[0,1,0] neg_lo:[0,1,0] neg_hi:[0,1,0]
	v_pk_mul_f16 v7, 0xb461, v52 op_sel_hi:[0,1]
	v_pk_add_f16 v1, v9, v1
	v_pk_fma_f16 v9, 0x3b29, v32, v12 op_sel:[0,0,1] op_sel_hi:[0,1,0]
	v_add_f16_e64 v110, v155, v110
	v_fmac_f16_e64 v157, 0xb1e1, v45
	v_add_f16_e64 v113, v137, v113
	v_fmac_f16_e64 v139, 0xb5c8, v45
	v_fma_f16 v177, 0x3bb2, v49, v176
	v_fmac_f16_e64 v176, 0xbbb2, v49
	v_pk_add_f16 v5, v6, v5
	v_pk_fma_f16 v6, 0xbbb2, v45, v7 op_sel:[0,0,1] op_sel_hi:[0,1,0] neg_lo:[0,1,0] neg_hi:[0,1,0]
	v_pk_mul_f16 v11, 0x2de8, v53 op_sel_hi:[0,1]
	v_pk_add_f16 v1, v9, v1
	v_pk_fma_f16 v7, 0xbbb2, v45, v7 op_sel:[0,0,1] op_sel_hi:[0,1,0]
	v_bfi_b32 v28, 0xffff, v74, v88
	v_fmac_f16_e64 v132, 0x3964, v49
	v_add_f16_e64 v110, v157, v110
	v_fmac_f16_e64 v160, 0x3b29, v49
	v_fma_f16 v129, v53, 0x3722, -v174
	v_add_f16_e64 v113, v139, v113
	v_fmac_f16_e64 v142, 0xba62, v49
	v_add_f16_e64 v112, v176, v112
	v_pk_add_f16 v5, v6, v5
	v_pk_fma_f16 v6, 0x3bf7, v49, v11 op_sel:[0,0,1] op_sel_hi:[0,1,0] neg_lo:[0,1,0] neg_hi:[0,1,0]
	v_pk_add_f16 v1, v7, v1
	v_pk_fma_f16 v7, 0x3bf7, v49, v11 op_sel:[0,0,1] op_sel_hi:[0,1,0]
	v_pk_add_f16 v3, v28, v3
	v_add_f16_e64 v116, v132, v116
	v_add_f16_e64 v110, v160, v110
	;; [unrolled: 1-line block ×4, first 2 shown]
	v_pk_add_f16 v0, v16, v0
	v_pack_b32_f16 v9, v108, v112
	v_pk_add_f16 v5, v6, v5
	v_pk_add_f16 v1, v7, v1
	v_add_f16_e64 v106, v177, v106
	v_add_f16_e64 v140, v170, v140
	v_alignbit_b32 v8, v8, v3, 16
	v_pack_b32_f16 v3, v4, v3
	v_pack_b32_f16 v4, v10, v39
	;; [unrolled: 1-line block ×5, first 2 shown]
	ds_store_2addr_b32 v2, v0, v9 offset1:7
	v_alignbit_b32 v0, v5, v1, 16
	v_alignbit_b32 v1, v1, v5, 16
	v_pack_b32_f16 v5, v105, v109
	v_pack_b32_f16 v9, v140, v106
	;; [unrolled: 1-line block ×4, first 2 shown]
	v_perm_b32 v13, v48, v21, 0x5040100
	v_perm_b32 v14, v31, v30, 0x5040100
	;; [unrolled: 1-line block ×3, first 2 shown]
	ds_store_2addr_b32 v2, v3, v8 offset0:1 offset1:2
	ds_store_2addr_b32 v2, v4, v6 offset0:3 offset1:4
	;; [unrolled: 1-line block ×7, first 2 shown]
	ds_store_b32 v2, v15 offset:64
.LBB0_7:
	s_wait_alu 0xfffe
	s_or_b32 exec_lo, exec_lo, s0
	v_add_nc_u16 v0, v42, 0x55
	v_and_b32_e32 v1, 0xff, v42
	v_add_co_u32 v5, null, 0xff, v42
	v_add_co_u32 v6, null, 0x154, v42
	s_delay_alu instid0(VALU_DEP_4) | instskip(NEXT) | instid1(VALU_DEP_4)
	v_and_b32_e32 v2, 0xff, v0
	v_mul_lo_u16 v3, 0xf1, v1
	v_add_nc_u16 v1, v42, 0xaa
	v_add_co_u32 v7, null, 0x1a9, v42
	s_delay_alu instid0(VALU_DEP_4) | instskip(NEXT) | instid1(VALU_DEP_4)
	v_mul_lo_u16 v2, 0xf1, v2
	v_lshrrev_b16 v16, 12, v3
	v_add_co_u32 v9, null, 0x1fe, v42
	v_and_b32_e32 v10, 0xff, v1
	s_delay_alu instid0(VALU_DEP_4) | instskip(NEXT) | instid1(VALU_DEP_4)
	v_lshrrev_b16 v23, 12, v2
	v_mul_lo_u16 v4, v16, 17
	v_and_b32_e32 v11, 0xffff, v5
	v_and_b32_e32 v12, 0xffff, v6
	;; [unrolled: 1-line block ×3, first 2 shown]
	v_mul_lo_u16 v8, v23, 17
	v_sub_nc_u16 v4, v42, v4
	s_load_b128 s[4:7], s[4:5], 0x0
	v_mul_u32_u24_e32 v12, 0xf0f1, v12
	v_mul_u32_u24_e32 v13, 0xf0f1, v13
	v_sub_nc_u16 v8, v0, v8
	v_and_b32_e32 v24, 0xff, v4
	v_mul_lo_u16 v4, 0xf1, v10
	v_mul_u32_u24_e32 v10, 0xf0f1, v11
	v_lshrrev_b32_e32 v28, 20, v12
	v_and_b32_e32 v25, 0xff, v8
	v_and_b32_e32 v8, 0xffff, v9
	v_lshrrev_b16 v26, 12, v4
	v_lshrrev_b32_e32 v27, 20, v10
	v_lshrrev_b32_e32 v32, 20, v13
	v_mul_lo_u16 v12, v28, 17
	v_mul_u32_u24_e32 v8, 0xf0f1, v8
	v_mul_lo_u16 v10, v26, 17
	v_lshlrev_b32_e32 v11, 2, v24
	v_mul_lo_u16 v13, v32, 17
	v_sub_nc_u16 v35, v6, v12
	v_lshrrev_b32_e32 v33, 20, v8
	v_mul_lo_u16 v8, v27, 17
	v_sub_nc_u16 v10, v1, v10
	v_sub_nc_u16 v36, v7, v13
	global_wb scope:SCOPE_SE
	s_wait_dscnt 0x0
	v_mul_lo_u16 v15, v33, 17
	v_sub_nc_u16 v34, v5, v8
	s_wait_kmcnt 0x0
	s_barrier_signal -1
	s_barrier_wait -1
	global_inv scope:SCOPE_SE
	v_sub_nc_u16 v38, v9, v15
	v_and_b32_e32 v37, 0xff, v10
	global_load_b32 v57, v11, s[2:3]
	v_and_b32_e32 v5, 0xffff, v34
	v_and_b32_e32 v6, 0xffff, v35
	;; [unrolled: 1-line block ×3, first 2 shown]
	v_lshlrev_b32_e32 v14, 2, v25
	v_and_b32_e32 v8, 0xffff, v38
	v_lshlrev_b32_e32 v9, 2, v37
	v_lshlrev_b32_e32 v5, 2, v5
	;; [unrolled: 1-line block ×5, first 2 shown]
	s_clause 0x5
	global_load_b32 v56, v14, s[2:3]
	global_load_b32 v55, v9, s[2:3]
	;; [unrolled: 1-line block ×6, first 2 shown]
	v_add_lshl_u32 v45, v29, v42, 2
	v_mul_lo_u16 v44, v16, 34
	v_and_b32_e32 v23, 0xffff, v23
	v_and_b32_e32 v26, 0xffff, v26
	v_mad_u16 v27, v27, 34, v34
	v_add_nc_u32_e32 v39, 0x600, v45
	v_add_nc_u32_e32 v5, 0x800, v45
	ds_load_2addr_b32 v[6:7], v45 offset1:85
	ds_load_2addr_b32 v[8:9], v45 offset0:170 offset1:255
	ds_load_2addr_b32 v[10:11], v39 offset0:126 offset1:211
	ds_load_2addr_b32 v[12:13], v5 offset0:168 offset1:253
	v_add_nc_u32_e32 v14, 0xc00, v45
	v_add_nc_u32_e32 v17, 0x400, v45
	;; [unrolled: 1-line block ×3, first 2 shown]
	ds_load_2addr_b32 v[14:15], v14 offset0:82 offset1:167
	ds_load_2addr_b32 v[18:19], v17 offset0:84 offset1:169
	v_and_b32_e32 v44, 0xfe, v44
	ds_load_2addr_b32 v[16:17], v40 offset0:124 offset1:209
	v_mul_u32_u24_e32 v23, 34, v23
	v_mul_u32_u24_e32 v26, 34, v26
	v_mad_u16 v28, v28, 34, v35
	v_add_nc_u32_e32 v24, v44, v24
	v_mad_u16 v32, v32, 34, v36
	v_add_nc_u32_e32 v23, v23, v25
	v_mad_u16 v33, v33, 34, v38
	v_and_b32_e32 v25, 0xffff, v27
	v_add_lshl_u32 v63, v29, v24, 2
	v_add_nc_u32_e32 v24, v26, v37
	s_wait_dscnt 0x4
	v_lshrrev_b32_e32 v68, 16, v11
	s_wait_dscnt 0x3
	v_lshrrev_b32_e32 v69, 16, v12
	v_add_lshl_u32 v64, v29, v23, 2
	v_lshrrev_b32_e32 v71, 16, v13
	v_add_lshl_u32 v58, v29, v24, 2
	v_and_b32_e32 v26, 0xffff, v28
	v_and_b32_e32 v27, 0xffff, v32
	s_wait_dscnt 0x2
	v_lshrrev_b32_e32 v78, 16, v14
	v_and_b32_e32 v28, 0xffff, v33
	v_lshrrev_b32_e32 v80, 16, v15
	s_wait_dscnt 0x0
	v_lshrrev_b32_e32 v82, 16, v16
	v_lshrrev_b32_e32 v84, 16, v17
	v_lshrrev_b32_e32 v50, 16, v6
	v_add_lshl_u32 v59, v29, v25, 2
	v_add_lshl_u32 v60, v29, v26, 2
	;; [unrolled: 1-line block ×4, first 2 shown]
	v_lshrrev_b32_e32 v65, 16, v7
	v_lshrrev_b32_e32 v66, 16, v8
	;; [unrolled: 1-line block ×6, first 2 shown]
	global_wb scope:SCOPE_SE
	s_wait_loadcnt 0x0
	s_barrier_signal -1
	s_barrier_wait -1
	global_inv scope:SCOPE_SE
	v_add_nc_u32_e32 v49, 0x200, v45
	v_add_nc_u32_e32 v5, 0xa00, v45
	v_cmp_gt_u16_e64 s0, 0x44, v42
	v_lshrrev_b32_e32 v76, 16, v57
	s_delay_alu instid0(VALU_DEP_1)
	v_mul_f16_e32 v23, v68, v76
	v_mul_f16_e32 v24, v11, v76
	v_lshrrev_b32_e32 v77, 16, v56
	v_lshrrev_b32_e32 v75, 16, v55
	;; [unrolled: 1-line block ×6, first 2 shown]
	v_fma_f16 v11, v11, v57, -v23
	v_fmac_f16_e32 v24, v68, v57
	v_mul_f16_e32 v23, v69, v77
	v_mul_f16_e32 v25, v12, v77
	;; [unrolled: 1-line block ×12, first 2 shown]
	v_fma_f16 v12, v12, v56, -v23
	v_fmac_f16_e32 v25, v69, v56
	v_sub_f16_e32 v11, v6, v11
	v_sub_f16_e32 v23, v50, v24
	v_fma_f16 v13, v13, v55, -v26
	v_fmac_f16_e32 v27, v71, v55
	v_fma_f16 v14, v14, v54, -v28
	v_fmac_f16_e32 v32, v78, v54
	;; [unrolled: 2-line block ×5, first 2 shown]
	v_fma_f16 v6, v6, 2.0, -v11
	v_fma_f16 v24, v50, 2.0, -v23
	v_sub_f16_e32 v26, v7, v12
	v_sub_f16_e32 v25, v65, v25
	;; [unrolled: 1-line block ×12, first 2 shown]
	v_pack_b32_f16 v11, v11, v23
	v_fma_f16 v7, v7, 2.0, -v26
	v_fma_f16 v23, v65, 2.0, -v25
	v_pack_b32_f16 v6, v6, v24
	v_fma_f16 v8, v8, 2.0, -v28
	v_fma_f16 v36, v66, 2.0, -v27
	v_fma_f16 v9, v9, 2.0, -v14
	v_fma_f16 v38, v67, 2.0, -v37
	v_fma_f16 v18, v18, 2.0, -v15
	v_fma_f16 v50, v79, 2.0, -v44
	v_fma_f16 v12, v19, 2.0, -v13
	v_fma_f16 v32, v81, 2.0, -v34
	v_fma_f16 v16, v10, 2.0, -v17
	v_fma_f16 v35, v83, 2.0, -v33
	v_pack_b32_f16 v10, v26, v25
	ds_store_2addr_b32 v63, v6, v11 offset1:17
	v_pack_b32_f16 v6, v7, v23
	v_pack_b32_f16 v19, v28, v27
	;; [unrolled: 1-line block ×11, first 2 shown]
	ds_store_2addr_b32 v64, v6, v10 offset1:17
	ds_store_2addr_b32 v58, v7, v19 offset1:17
	;; [unrolled: 1-line block ×6, first 2 shown]
	global_wb scope:SCOPE_SE
	s_wait_dscnt 0x0
	s_barrier_signal -1
	s_barrier_wait -1
	global_inv scope:SCOPE_SE
	ds_load_2addr_b32 v[14:15], v45 offset1:85
	ds_load_2addr_b32 v[27:28], v49 offset0:110 offset1:195
	ds_load_2addr_b32 v[25:26], v39 offset0:92 offset1:177
	;; [unrolled: 1-line block ×4, first 2 shown]
	s_and_saveexec_b32 s1, s0
	s_cbranch_execz .LBB0_9
; %bb.8:
	v_add_nc_u32_e32 v6, 0x280, v45
	ds_load_2addr_b32 v[16:17], v5 offset0:6 offset1:244
	ds_load_2addr_b32 v[12:13], v6 offset0:10 offset1:248
	ds_load_b32 v30, v45 offset:4488
	s_wait_dscnt 0x2
	v_lshrrev_b32_e32 v35, 16, v16
	v_lshrrev_b32_e32 v33, 16, v17
	s_wait_dscnt 0x1
	v_lshrrev_b32_e32 v32, 16, v12
	v_lshrrev_b32_e32 v34, 16, v13
	s_wait_dscnt 0x0
	v_lshrrev_b32_e32 v31, 16, v30
.LBB0_9:
	s_wait_alu 0xfffe
	s_or_b32 exec_lo, exec_lo, s1
	v_lshrrev_b16 v36, 13, v3
	v_lshrrev_b16 v37, 13, v2
	;; [unrolled: 1-line block ×3, first 2 shown]
	s_wait_dscnt 0x3
	v_lshrrev_b32_e32 v44, 16, v27
	s_wait_dscnt 0x2
	v_lshrrev_b32_e32 v86, 16, v25
	v_mul_lo_u16 v2, v36, 34
	v_mul_lo_u16 v3, v37, 34
	;; [unrolled: 1-line block ×3, first 2 shown]
	v_and_b32_e32 v36, 0xffff, v36
	v_and_b32_e32 v37, 0xffff, v37
	v_sub_nc_u16 v2, v42, v2
	v_sub_nc_u16 v0, v0, v3
	;; [unrolled: 1-line block ×3, first 2 shown]
	s_wait_dscnt 0x1
	v_lshrrev_b32_e32 v87, 16, v23
	s_wait_dscnt 0x0
	v_lshrrev_b32_e32 v88, 16, v18
	v_and_b32_e32 v38, 0xff, v2
	v_and_b32_e32 v39, 0xff, v0
	;; [unrolled: 1-line block ×3, first 2 shown]
	v_mul_u32_u24_e32 v36, 0xaa, v36
	v_mul_u32_u24_e32 v37, 0xaa, v37
	v_lshlrev_b32_e32 v0, 4, v38
	v_lshlrev_b32_e32 v1, 4, v39
	v_lshrrev_b32_e32 v90, 16, v28
	v_lshrrev_b32_e32 v91, 16, v26
	;; [unrolled: 1-line block ×3, first 2 shown]
	global_load_b128 v[8:11], v0, s[2:3] offset:68
	v_lshlrev_b32_e32 v0, 4, v49
	v_lshrrev_b32_e32 v93, 16, v19
	v_add_nc_u32_e32 v36, v36, v38
	s_clause 0x1
	global_load_b128 v[4:7], v1, s[2:3] offset:68
	global_load_b128 v[0:3], v0, s[2:3] offset:68
	v_add_nc_u32_e32 v37, v37, v39
	v_lshrrev_b32_e32 v40, 16, v14
	v_add_lshl_u32 v71, v29, v36, 2
	v_lshrrev_b32_e32 v89, 16, v15
	global_wb scope:SCOPE_SE
	s_wait_loadcnt 0x0
	v_add_lshl_u32 v69, v29, v37, 2
	s_barrier_signal -1
	s_barrier_wait -1
	global_inv scope:SCOPE_SE
	v_lshrrev_b32_e32 v85, 16, v8
	v_lshrrev_b32_e32 v84, 16, v9
	;; [unrolled: 1-line block ×11, first 2 shown]
	v_mul_f16_e32 v94, v44, v85
	v_mul_f16_e32 v95, v27, v85
	;; [unrolled: 1-line block ×8, first 2 shown]
	v_lshrrev_b32_e32 v65, 16, v0
	v_mul_f16_e32 v102, v90, v81
	v_mul_f16_e32 v103, v28, v81
	;; [unrolled: 1-line block ×13, first 2 shown]
	v_fma_f16 v27, v27, v8, -v94
	v_fmac_f16_e32 v95, v44, v8
	v_fma_f16 v25, v25, v9, -v96
	v_fmac_f16_e32 v97, v86, v9
	;; [unrolled: 2-line block ×4, first 2 shown]
	v_mul_f16_e32 v110, v34, v65
	v_mul_f16_e32 v113, v31, v66
	v_fma_f16 v23, v28, v4, -v102
	v_fmac_f16_e32 v103, v90, v4
	v_fma_f16 v28, v26, v5, -v104
	v_fmac_f16_e32 v105, v91, v5
	;; [unrolled: 2-line block ×4, first 2 shown]
	v_mul_f16_e32 v39, v13, v65
	v_fma_f16 v18, v16, v1, -v111
	v_fmac_f16_e32 v38, v35, v1
	v_fma_f16 v16, v17, v2, -v112
	v_fmac_f16_e32 v37, v33, v2
	v_fmac_f16_e32 v36, v31, v3
	v_add_f16_e32 v31, v25, v44
	v_sub_f16_e32 v35, v27, v25
	v_sub_f16_e32 v90, v86, v44
	v_add_f16_e32 v91, v27, v86
	v_sub_f16_e32 v92, v25, v27
	v_sub_f16_e32 v93, v44, v86
	v_add_f16_e32 v94, v40, v95
	v_add_f16_e32 v96, v97, v99
	;; [unrolled: 1-line block ×3, first 2 shown]
	v_fma_f16 v19, v13, v0, -v110
	v_fma_f16 v13, v30, v3, -v113
	v_add_f16_e32 v30, v14, v27
	v_sub_f16_e32 v100, v27, v86
	v_sub_f16_e32 v27, v95, v97
	;; [unrolled: 1-line block ×3, first 2 shown]
	v_add_f16_e32 v110, v28, v87
	v_add_f16_e32 v118, v89, v103
	;; [unrolled: 1-line block ×5, first 2 shown]
	v_fmac_f16_e32 v39, v34, v0
	v_sub_f16_e32 v33, v95, v101
	v_add_f16_e32 v108, v15, v23
	v_add_f16_e32 v126, v18, v16
	v_add_f16_e64 v129, v38, v37
	v_fma_f16 v31, -0.5, v31, v14
	v_add_f16_e32 v35, v35, v90
	v_fma_f16 v90, -0.5, v91, v14
	v_add_f16_e32 v91, v92, v93
	v_add_f16_e32 v92, v94, v97
	v_fma_f16 v93, -0.5, v96, v40
	v_sub_f16_e32 v34, v97, v99
	v_sub_f16_e32 v102, v25, v44
	;; [unrolled: 1-line block ×4, first 2 shown]
	v_fmac_f16_e32 v40, -0.5, v104
	v_sub_f16_e32 v111, v103, v109
	v_sub_f16_e32 v112, v105, v107
	;; [unrolled: 1-line block ×7, first 2 shown]
	v_add_f16_e32 v94, v27, v98
	v_fma_f16 v96, -0.5, v110, v15
	v_add_f16_e32 v98, v118, v105
	v_fma_f16 v105, -0.5, v119, v89
	v_sub_f16_e32 v121, v28, v87
	v_fmac_f16_e32 v15, -0.5, v115
	v_fmac_f16_e32 v89, -0.5, v124
	v_sub_f16_e32 v106, v99, v101
	v_sub_f16_e32 v17, v39, v36
	;; [unrolled: 1-line block ×3, first 2 shown]
	v_add_f16_e64 v132, v30, v25
	v_add_f16_e32 v28, v108, v28
	v_fma_f16 v14, -0.5, v126, v12
	v_fma_f16 v25, -0.5, v129, v32
	v_fmamk_f16 v108, v33, 0x3b9c, v31
	v_add_f16_e32 v92, v92, v99
	v_fmamk_f16 v99, v100, 0xbb9c, v93
	v_sub_f16_e32 v95, v97, v95
	v_add_f16_e32 v97, v113, v114
	v_fmamk_f16 v110, v34, 0xbb9c, v90
	v_fmac_f16_e32 v90, 0x3b9c, v34
	v_fmamk_f16 v113, v102, 0x3b9c, v40
	v_fmac_f16_e32 v40, 0xbb9c, v102
	v_fmac_f16_e32 v31, 0xbb9c, v33
	;; [unrolled: 1-line block ×3, first 2 shown]
	v_sub_f16_e32 v123, v109, v107
	v_add_f16_e32 v104, v116, v117
	v_fmamk_f16 v114, v111, 0x3b9c, v96
	v_fmamk_f16 v116, v120, 0xbb9c, v105
	v_sub_f16_e32 v125, v107, v109
	v_fmamk_f16 v115, v112, 0xbb9c, v15
	v_fmac_f16_e32 v15, 0x3b9c, v112
	v_fmamk_f16 v117, v121, 0x3b9c, v89
	v_fmac_f16_e32 v89, 0xbb9c, v121
	v_sub_f16_e32 v23, v38, v37
	v_sub_f16_e32 v127, v19, v18
	v_sub_f16_e64 v128, v13, v16
	v_sub_f16_e32 v26, v18, v16
	v_sub_f16_e64 v130, v39, v38
	v_sub_f16_e64 v131, v36, v37
	v_add_f16_e64 v44, v132, v44
	v_add_f16_e32 v87, v28, v87
	v_fmac_f16_e32 v96, 0xbb9c, v111
	v_add_f16_e32 v107, v98, v107
	v_fmac_f16_e32 v105, 0x3b9c, v120
	v_fmamk_f16 v28, v17, 0xbb9c, v14
	v_fmamk_f16 v98, v24, 0x3b9c, v25
	v_fmac_f16_e32 v108, 0x38b4, v34
	v_fmac_f16_e32 v99, 0xb8b4, v102
	v_add_f16_e32 v95, v95, v106
	v_fmac_f16_e32 v110, 0x38b4, v33
	v_fmac_f16_e32 v90, 0xb8b4, v33
	;; [unrolled: 1-line block ×6, first 2 shown]
	v_add_f16_e32 v106, v122, v123
	v_fmac_f16_e32 v114, 0x38b4, v112
	v_fmac_f16_e32 v116, 0xb8b4, v121
	v_add_f16_e32 v103, v103, v125
	v_fmac_f16_e32 v115, 0x38b4, v111
	v_fmac_f16_e32 v15, 0xb8b4, v111
	;; [unrolled: 1-line block ×4, first 2 shown]
	v_add_f16_e64 v30, v127, v128
	v_add_f16_e64 v27, v130, v131
	v_add_f16_e32 v44, v44, v86
	v_add_f16_e32 v33, v92, v101
	v_fmac_f16_e32 v96, 0xb8b4, v112
	v_fmac_f16_e32 v105, 0x38b4, v121
	;; [unrolled: 1-line block ×12, first 2 shown]
	v_add_f16_e32 v34, v87, v88
	v_add_f16_e32 v86, v107, v109
	v_fmac_f16_e32 v114, 0x34f2, v97
	v_fmac_f16_e32 v116, 0x34f2, v106
	;; [unrolled: 1-line block ×10, first 2 shown]
	v_pack_b32_f16 v33, v44, v33
	v_pack_b32_f16 v35, v108, v99
	;; [unrolled: 1-line block ×10, first 2 shown]
	ds_store_2addr_b32 v71, v33, v35 offset1:34
	ds_store_2addr_b32 v71, v44, v40 offset0:68 offset1:102
	ds_store_b32 v71, v31 offset:544
	ds_store_2addr_b32 v69, v34, v86 offset1:34
	ds_store_2addr_b32 v69, v87, v15 offset0:68 offset1:102
	ds_store_b32 v69, v88 offset:544
	s_and_saveexec_b32 s1, s0
	s_cbranch_execz .LBB0_11
; %bb.10:
	v_sub_f16_e32 v35, v38, v39
	v_sub_f16_e32 v40, v37, v36
	v_add_f16_e32 v44, v19, v13
	v_add_f16_e32 v15, v39, v36
	v_mul_f16_e32 v31, 0x3b9c, v17
	v_mul_f16_e32 v33, 0x38b4, v23
	v_add_f16_e32 v35, v35, v40
	v_fma_f16 v40, -0.5, v44, v12
	v_mul_f16_e32 v34, 0x3b9c, v24
	v_add_f16_e32 v12, v12, v19
	v_fma_f16 v15, -0.5, v15, v32
	v_mul_f16_e32 v86, 0x38b4, v26
	v_fmamk_f16 v44, v23, 0x3b9c, v40
	v_fmac_f16_e32 v40, 0xbb9c, v23
	v_add_f16_e32 v23, v32, v39
	v_sub_f16_e32 v88, v18, v19
	v_add_f16_e32 v12, v12, v18
	v_fmac_f16_e32 v44, 0xb8b4, v17
	v_fmac_f16_e32 v40, 0x38b4, v17
	v_sub_f16_e32 v17, v25, v34
	v_add_f16_e32 v19, v23, v38
	v_and_b32_e32 v23, 0xffff, v50
	v_add_f16_e32 v14, v14, v31
	v_fmamk_f16 v87, v26, 0xbb9c, v15
	v_fmac_f16_e32 v15, 0x3b9c, v26
	v_sub_f16_e32 v26, v16, v13
	v_mul_f16_e32 v30, 0x34f2, v30
	v_mul_f16_e32 v27, 0x34f2, v27
	v_sub_f16_e32 v17, v17, v86
	v_add_f16_e32 v18, v19, v37
	v_mul_u32_u24_e32 v19, 0xaa, v23
	v_add_f16_e32 v12, v12, v16
	v_add_f16_e32 v14, v33, v14
	v_fmac_f16_e32 v87, 0x38b4, v24
	v_fmac_f16_e32 v15, 0xb8b4, v24
	v_add_f16_e32 v24, v88, v26
	v_add_f16_e32 v16, v27, v17
	;; [unrolled: 1-line block ×3, first 2 shown]
	v_add_nc_u32_e32 v18, v19, v49
	v_add_f16_e32 v12, v12, v13
	v_add_f16_e32 v13, v30, v14
	v_fmac_f16_e32 v87, 0x34f2, v35
	v_fmac_f16_e32 v15, 0x34f2, v35
	;; [unrolled: 1-line block ×4, first 2 shown]
	v_add_lshl_u32 v14, v29, v18, 2
	v_pack_b32_f16 v12, v12, v17
	v_pack_b32_f16 v13, v13, v16
	;; [unrolled: 1-line block ×4, first 2 shown]
	v_perm_b32 v17, v98, v28, 0x5040100
	ds_store_2addr_b32 v14, v12, v13 offset1:34
	ds_store_2addr_b32 v14, v15, v16 offset0:68 offset1:102
	ds_store_b32 v14, v17 offset:544
.LBB0_11:
	s_wait_alu 0xfffe
	s_or_b32 exec_lo, exec_lo, s1
	v_mad_co_u64_u32 v[25:26], null, v42, 24, s[2:3]
	global_wb scope:SCOPE_SE
	s_wait_dscnt 0x0
	s_barrier_signal -1
	s_barrier_wait -1
	global_inv scope:SCOPE_SE
	v_add_nc_u32_e32 v27, 0x400, v45
	v_add_nc_u32_e32 v35, 0x600, v45
	s_clause 0x3
	global_load_b128 v[16:19], v[25:26], off offset:612
	global_load_b64 v[23:24], v[25:26], off offset:628
	global_load_b128 v[12:15], v[25:26], off offset:2652
	global_load_b64 v[25:26], v[25:26], off offset:2668
	v_add_nc_u32_e32 v37, 0x800, v45
	v_add_nc_u32_e32 v39, 0xc00, v45
	;; [unrolled: 1-line block ×3, first 2 shown]
	ds_load_2addr_b32 v[29:30], v45 offset1:85
	ds_load_2addr_b32 v[31:32], v45 offset0:170 offset1:255
	ds_load_2addr_b32 v[33:34], v27 offset0:84 offset1:169
	;; [unrolled: 1-line block ×6, first 2 shown]
	v_lshl_add_u32 v44, v42, 2, v43
	s_delay_alu instid0(VALU_DEP_1)
	v_add_nc_u32_e32 v101, 0x200, v44
	v_add_nc_u32_e32 v102, 0x400, v44
	v_add_nc_u32_e32 v103, 0x800, v44
	v_add_nc_u32_e32 v104, 0xc00, v44
	v_add_nc_u32_e32 v105, 0xa00, v44
	s_wait_dscnt 0x4
	v_lshrrev_b32_e32 v109, 16, v33
	s_wait_dscnt 0x3
	v_lshrrev_b32_e32 v110, 16, v35
	;; [unrolled: 2-line block ×3, first 2 shown]
	v_lshrrev_b32_e32 v106, 16, v31
	s_wait_dscnt 0x1
	v_lshrrev_b32_e32 v112, 16, v39
	s_wait_dscnt 0x0
	v_lshrrev_b32_e32 v113, 16, v99
	v_lshrrev_b32_e32 v108, 16, v32
	;; [unrolled: 1-line block ×9, first 2 shown]
	s_wait_loadcnt 0x3
	v_lshrrev_b32_e32 v97, 16, v16
	v_lshrrev_b32_e32 v96, 16, v17
	s_wait_loadcnt 0x2
	v_lshrrev_b32_e32 v93, 16, v23
	v_lshrrev_b32_e32 v92, 16, v24
	;; [unrolled: 1-line block ×4, first 2 shown]
	s_wait_loadcnt 0x1
	v_lshrrev_b32_e32 v91, 16, v12
	v_lshrrev_b32_e32 v90, 16, v13
	s_wait_loadcnt 0x0
	v_lshrrev_b32_e32 v87, 16, v25
	v_lshrrev_b32_e32 v86, 16, v26
	;; [unrolled: 1-line block ×4, first 2 shown]
	v_mul_f16_e32 v119, v106, v97
	v_mul_f16_e32 v120, v31, v97
	;; [unrolled: 1-line block ×5, first 2 shown]
	v_mul_f16_e64 v128, v39, v93
	v_mul_f16_e64 v129, v113, v92
	;; [unrolled: 1-line block ×3, first 2 shown]
	v_mul_f16_e32 v123, v110, v95
	v_mul_f16_e32 v124, v35, v95
	;; [unrolled: 1-line block ×4, first 2 shown]
	v_mul_f16_e64 v131, v108, v91
	v_mul_f16_e64 v132, v32, v91
	;; [unrolled: 1-line block ×12, first 2 shown]
	v_fma_f16 v31, v31, v16, -v119
	v_fmac_f16_e32 v120, v106, v16
	v_fma_f16 v33, v33, v17, -v121
	v_fmac_f16_e32 v122, v109, v17
	v_fma_f16 v39, v39, v23, -v127
	v_fmac_f16_e64 v128, v112, v23
	v_fma_f16 v99, v99, v24, -v129
	v_fmac_f16_e64 v130, v113, v24
	v_fma_f16 v35, v35, v18, -v123
	v_fmac_f16_e32 v124, v110, v18
	v_fma_f16 v37, v37, v19, -v125
	v_fmac_f16_e32 v126, v111, v19
	v_fma_f16 v32, v32, v12, -v131
	v_fmac_f16_e64 v132, v108, v12
	v_fma_f16 v34, v34, v13, -v133
	v_fmac_f16_e64 v134, v114, v13
	;; [unrolled: 2-line block ×6, first 2 shown]
	v_add_f16_e32 v106, v31, v99
	v_add_f16_e64 v108, v120, v130
	v_add_f16_e32 v109, v33, v39
	v_add_f16_e64 v110, v122, v128
	v_sub_f16_e32 v31, v31, v99
	v_sub_f16_e32 v33, v33, v39
	v_sub_f16_e64 v39, v122, v128
	v_add_f16_e32 v111, v35, v37
	v_add_f16_e32 v112, v124, v126
	v_sub_f16_e32 v35, v37, v35
	v_sub_f16_e32 v37, v126, v124
	v_add_f16_e32 v113, v32, v100
	v_add_f16_e64 v114, v132, v142
	v_add_f16_e32 v115, v34, v40
	v_add_f16_e64 v116, v134, v140
	v_sub_f16_e64 v99, v120, v130
	v_sub_f16_e32 v32, v32, v100
	v_sub_f16_e64 v100, v132, v142
	v_sub_f16_e32 v34, v34, v40
	v_sub_f16_e64 v40, v134, v140
	v_add_f16_e32 v117, v36, v38
	v_add_f16_e64 v118, v136, v138
	v_sub_f16_e32 v36, v38, v36
	v_sub_f16_e64 v38, v138, v136
	v_add_f16_e32 v119, v109, v106
	v_add_f16_e32 v120, v110, v108
	v_sub_f16_e32 v121, v109, v106
	v_sub_f16_e32 v122, v110, v108
	;; [unrolled: 1-line block ×6, first 2 shown]
	v_add_f16_e32 v123, v35, v33
	v_add_f16_e32 v124, v37, v39
	v_sub_f16_e32 v125, v35, v33
	v_sub_f16_e32 v126, v37, v39
	;; [unrolled: 1-line block ×3, first 2 shown]
	v_add_f16_e32 v127, v115, v113
	v_add_f16_e64 v128, v116, v114
	v_sub_f16_e64 v129, v115, v113
	v_sub_f16_e64 v130, v116, v114
	v_sub_f16_e32 v113, v113, v117
	v_sub_f16_e32 v114, v114, v118
	v_add_f16_e64 v131, v36, v34
	v_add_f16_e64 v132, v38, v40
	v_sub_f16_e64 v133, v36, v34
	v_sub_f16_e64 v134, v38, v40
	v_sub_f16_e32 v34, v34, v32
	v_sub_f16_e32 v40, v40, v100
	v_add_f16_e32 v111, v111, v119
	v_add_f16_e32 v112, v112, v120
	v_sub_f16_e32 v35, v31, v35
	v_sub_f16_e32 v39, v39, v99
	;; [unrolled: 1-line block ×4, first 2 shown]
	v_add_f16_e32 v31, v123, v31
	v_add_f16_e32 v119, v124, v99
	v_mul_f16_e32 v106, 0x3a52, v106
	v_mul_f16_e32 v108, 0x3a52, v108
	;; [unrolled: 1-line block ×7, first 2 shown]
	v_add_f16_e32 v117, v117, v127
	v_add_f16_e64 v118, v118, v128
	v_sub_f16_e32 v37, v99, v37
	v_sub_f16_e32 v36, v32, v36
	;; [unrolled: 1-line block ×3, first 2 shown]
	v_add_f16_e64 v127, v132, v100
	v_mul_f16_e32 v113, 0x3a52, v113
	v_mul_f16_e32 v114, 0x3a52, v114
	v_mul_f16_e64 v132, 0xb846, v133
	v_mul_f16_e64 v133, 0xb846, v134
	;; [unrolled: 1-line block ×4, first 2 shown]
	v_add_f16_e32 v99, v29, v111
	v_add_f16_e32 v100, v27, v112
	v_mul_f16_e64 v135, 0x3b00, v39
	v_mul_f16_e64 v128, 0x2b26, v115
	v_fmamk_f16 v27, v109, 0x2b26, v106
	v_fmamk_f16 v109, v110, 0x2b26, v108
	v_fma_f16 v110, v121, 0x39e0, -v120
	v_fma_f16 v120, v122, 0x39e0, -v123
	;; [unrolled: 1-line block ×4, first 2 shown]
	v_fmamk_f16 v122, v35, 0x3574, v124
	v_fma_f16 v124, v33, 0x3b00, -v124
	v_fma_f16 v35, v35, 0xb574, -v126
	v_add_f16_e32 v29, v30, v117
	v_add_f16_e32 v106, v107, v118
	v_add_f16_e64 v32, v131, v32
	v_mul_f16_e64 v131, 0x2b26, v116
	v_fmamk_f16 v123, v37, 0x3574, v125
	v_fmamk_f16 v30, v115, 0x2b26, v113
	;; [unrolled: 1-line block ×3, first 2 shown]
	v_fma_f16 v115, 0x3574, v36, v132
	v_fma_f16 v116, 0x3574, v38, v133
	v_fma_f16 v126, v34, 0x3b00, -v132
	v_fma_f16 v132, v36, 0xb574, -v134
	;; [unrolled: 1-line block ×3, first 2 shown]
	v_fmamk_f16 v34, v111, 0xbcab, v99
	v_fmamk_f16 v38, v112, 0xbcab, v100
	v_fma_f16 v39, v39, 0x3b00, -v125
	v_fma_f16 v125, v37, 0xb574, -v135
	;; [unrolled: 1-line block ×4, first 2 shown]
	v_fmac_f16_e32 v122, 0x370e, v31
	v_fmac_f16_e32 v124, 0x370e, v31
	;; [unrolled: 1-line block ×3, first 2 shown]
	v_fmamk_f16 v31, v117, 0xbcab, v29
	v_fmamk_f16 v40, v118, 0xbcab, v106
	v_fma_f16 v113, v129, 0xb9e0, -v113
	v_fma_f16 v114, v130, 0xb9e0, -v114
	;; [unrolled: 1-line block ×3, first 2 shown]
	v_fmac_f16_e32 v123, 0x370e, v119
	v_fmac_f16_e32 v115, 0x370e, v32
	;; [unrolled: 1-line block ×3, first 2 shown]
	v_fmac_f16_e64 v132, 0x370e, v32
	v_add_f16_e32 v27, v27, v34
	v_add_f16_e32 v32, v109, v38
	v_fmac_f16_e32 v39, 0x370e, v119
	v_fmac_f16_e32 v125, 0x370e, v119
	;; [unrolled: 1-line block ×3, first 2 shown]
	v_add_f16_e32 v109, v110, v34
	v_add_f16_e32 v117, v121, v34
	;; [unrolled: 1-line block ×5, first 2 shown]
	v_fmac_f16_e32 v36, 0x370e, v127
	v_add_f16_e32 v110, v120, v38
	v_add_f16_e32 v113, v113, v31
	;; [unrolled: 1-line block ×3, first 2 shown]
	v_fmac_f16_e64 v128, 0x370e, v127
	v_add_f16_e32 v120, v37, v31
	v_add_f16_e32 v107, v107, v40
	;; [unrolled: 1-line block ×3, first 2 shown]
	v_sub_f16_e64 v146, v32, v122
	v_add_f16_e32 v34, v125, v117
	v_sub_f16_e64 v147, v108, v35
	v_sub_f16_e32 v37, v109, v39
	v_add_f16_e32 v38, v39, v109
	v_sub_f16_e32 v39, v117, v125
	v_add_f16_e32 v30, v116, v118
	v_sub_f16_e32 v125, v119, v115
	v_add_f16_e64 v134, v124, v110
	v_sub_f16_e64 v131, v110, v124
	v_add_f16_e32 v31, v36, v113
	v_sub_f16_e64 v124, v114, v132
	v_sub_f16_e32 v40, v27, v123
	v_add_f16_e64 v129, v122, v32
	v_sub_f16_e64 v32, v120, v128
	v_add_f16_e32 v123, v126, v107
	v_pack_b32_f16 v111, v99, v100
	v_add_f16_e64 v130, v35, v108
	v_add_f16_e64 v35, v128, v120
	v_sub_f16_e32 v121, v107, v126
	v_sub_f16_e32 v36, v113, v36
	v_add_f16_e64 v120, v132, v114
	v_sub_f16_e32 v27, v118, v116
	v_add_f16_e32 v118, v115, v119
	v_pack_b32_f16 v112, v29, v106
	v_pack_b32_f16 v107, v33, v146
	;; [unrolled: 1-line block ×13, first 2 shown]
	ds_store_b32 v44, v111
	ds_store_2addr_b32 v44, v112, v107 offset0:85 offset1:170
	ds_store_2addr_b32 v101, v115, v108 offset0:127 offset1:212
	;; [unrolled: 1-line block ×6, first 2 shown]
	ds_store_b32 v44, v126 offset:4420
	global_wb scope:SCOPE_SE
	s_wait_dscnt 0x0
	s_barrier_signal -1
	s_barrier_wait -1
	global_inv scope:SCOPE_SE
	s_and_saveexec_b32 s1, vcc_lo
	s_cbranch_execz .LBB0_13
; %bb.12:
	global_load_b32 v105, v41, s[8:9] offset:4760
	s_add_nc_u64 s[2:3], s[8:9], 0x1298
	s_clause 0xf
	global_load_b32 v117, v41, s[2:3] offset:280
	global_load_b32 v119, v41, s[2:3] offset:560
	;; [unrolled: 1-line block ×16, first 2 shown]
	ds_load_b32 v107, v44
	v_add_nc_u32_e32 v151, 0x1000, v44
	s_wait_dscnt 0x0
	v_lshrrev_b32_e32 v108, 16, v107
	s_wait_loadcnt 0xf
	v_lshrrev_b32_e32 v152, 16, v117
	s_wait_loadcnt 0xe
	;; [unrolled: 2-line block ×12, first 2 shown]
	v_lshrrev_b32_e32 v163, 16, v144
	v_lshrrev_b32_e32 v109, 16, v105
	s_wait_loadcnt 0x3
	v_lshrrev_b32_e32 v164, 16, v145
	s_wait_loadcnt 0x2
	;; [unrolled: 2-line block ×4, first 2 shown]
	v_lshrrev_b32_e32 v167, 16, v150
	v_mul_f16_e32 v110, v108, v109
	v_mul_f16_e32 v109, v107, v109
	s_delay_alu instid0(VALU_DEP_2) | instskip(NEXT) | instid1(VALU_DEP_2)
	v_fma_f16 v107, v107, v105, -v110
	v_fmac_f16_e32 v109, v108, v105
	v_add_nc_u32_e32 v105, 0x600, v44
	s_delay_alu instid0(VALU_DEP_2)
	v_pack_b32_f16 v107, v107, v109
	ds_store_b32 v44, v107
	ds_load_2addr_b32 v[107:108], v44 offset0:70 offset1:140
	ds_load_2addr_b32 v[109:110], v101 offset0:82 offset1:152
	;; [unrolled: 1-line block ×8, first 2 shown]
	s_wait_dscnt 0x7
	v_lshrrev_b32_e32 v168, 16, v107
	v_lshrrev_b32_e32 v170, 16, v108
	s_wait_dscnt 0x6
	v_lshrrev_b32_e32 v172, 16, v109
	v_lshrrev_b32_e32 v174, 16, v110
	;; [unrolled: 3-line block ×5, first 2 shown]
	v_mul_f16_e64 v169, v107, v152
	v_mul_f16_e64 v171, v108, v153
	s_wait_dscnt 0x2
	v_lshrrev_b32_e32 v188, 16, v126
	v_lshrrev_b32_e32 v190, 16, v127
	s_wait_dscnt 0x1
	v_lshrrev_b32_e32 v192, 16, v132
	v_lshrrev_b32_e32 v194, 16, v133
	;; [unrolled: 3-line block ×3, first 2 shown]
	v_mul_f16_e64 v152, v168, v152
	v_mul_f16_e64 v153, v170, v153
	;; [unrolled: 1-line block ×24, first 2 shown]
	v_fmac_f16_e64 v169, v168, v117
	v_fmac_f16_e64 v171, v170, v119
	v_mul_f16_e64 v162, v188, v162
	v_mul_f16_e64 v163, v190, v163
	;; [unrolled: 1-line block ×6, first 2 shown]
	v_fma_f16 v107, v107, v117, -v152
	v_fma_f16 v108, v108, v119, -v153
	v_fmac_f16_e64 v173, v172, v122
	v_fmac_f16_e64 v175, v174, v128
	v_fma_f16 v109, v109, v122, -v154
	v_fma_f16 v110, v110, v128, -v155
	v_fmac_f16_e64 v177, v176, v137
	v_fmac_f16_e64 v179, v178, v138
	;; [unrolled: 4-line block ×5, first 2 shown]
	v_fmac_f16_e64 v193, v192, v145
	v_fmac_f16_e64 v195, v194, v148
	;; [unrolled: 1-line block ×4, first 2 shown]
	v_fma_f16 v117, v126, v143, -v162
	v_fma_f16 v119, v127, v144, -v163
	;; [unrolled: 1-line block ×6, first 2 shown]
	v_pack_b32_f16 v107, v107, v169
	v_pack_b32_f16 v108, v108, v171
	;; [unrolled: 1-line block ×16, first 2 shown]
	ds_store_2addr_b32 v44, v107, v108 offset0:70 offset1:140
	ds_store_2addr_b32 v101, v109, v110 offset0:82 offset1:152
	;; [unrolled: 1-line block ×8, first 2 shown]
.LBB0_13:
	s_wait_alu 0xfffe
	s_or_b32 exec_lo, exec_lo, s1
	global_wb scope:SCOPE_SE
	s_wait_dscnt 0x0
	s_barrier_signal -1
	s_barrier_wait -1
	global_inv scope:SCOPE_SE
	s_and_saveexec_b32 s1, vcc_lo
	s_cbranch_execz .LBB0_15
; %bb.14:
	v_add_nc_u32_e32 v21, 0x200, v44
	v_add_nc_u32_e32 v22, 0x400, v44
	;; [unrolled: 1-line block ×3, first 2 shown]
	ds_load_b32 v99, v44
	ds_load_2addr_b32 v[33:34], v44 offset0:70 offset1:140
	ds_load_2addr_b32 v[37:38], v21 offset0:82 offset1:152
	v_add_nc_u32_e32 v21, 0x800, v44
	ds_load_2addr_b32 v[39:40], v22 offset0:94 offset1:164
	v_add_nc_u32_e32 v22, 0xc00, v44
	ds_load_2addr_b32 v[29:30], v27 offset0:106 offset1:176
	ds_load_2addr_b32 v[31:32], v21 offset0:118 offset1:188
	v_add_nc_u32_e32 v21, 0x1000, v44
	ds_load_2addr_b32 v[35:36], v22 offset0:2 offset1:72
	ds_load_2addr_b32 v[27:28], v22 offset0:142 offset1:212
	;; [unrolled: 1-line block ×3, first 2 shown]
	s_wait_dscnt 0x8
	v_lshrrev_b32_e32 v100, 16, v99
	s_wait_dscnt 0x7
	v_lshrrev_b32_e32 v146, 16, v33
	v_lshrrev_b32_e32 v147, 16, v34
	s_wait_dscnt 0x6
	v_lshrrev_b32_e32 v134, 16, v37
	;; [unrolled: 3-line block ×8, first 2 shown]
	v_lshrrev_b32_e32 v47, 16, v22
.LBB0_15:
	s_wait_alu 0xfffe
	s_or_b32 exec_lo, exec_lo, s1
	s_delay_alu instid0(VALU_DEP_1)
	v_sub_f16_e64 v127, v146, v47
	v_add_f16_e64 v117, v47, v146
	v_add_f16_e32 v104, v22, v33
	v_sub_f16_e64 v132, v147, v48
	v_sub_f16_e32 v105, v33, v22
	v_mul_f16_e64 v148, 0xbb29, v127
	v_mul_f16_e64 v159, 0x3722, v117
	v_add_f16_e32 v103, v21, v34
	v_add_f16_e64 v128, v48, v147
	v_mul_f16_e64 v149, 0xba62, v132
	v_fma_f16 v101, v104, 0x3722, -v148
	v_fma_f16 v102, 0xbb29, v105, v159
	v_sub_f16_e32 v107, v34, v21
	v_mul_f16_e64 v161, 0xb8d2, v128
	v_sub_f16_e64 v135, v134, v98
	v_add_f16_e32 v101, v99, v101
	v_fma_f16 v109, v103, 0xb8d2, -v149
	v_add_f16_e64 v133, v98, v134
	v_add_f16_e32 v102, v100, v102
	v_fma_f16 v110, 0xba62, v107, v161
	v_add_f16_e32 v108, v28, v37
	v_mul_f16_e64 v150, 0x31e1, v135
	v_add_f16_e32 v101, v109, v101
	v_sub_f16_e32 v109, v37, v28
	v_mul_f16_e64 v153, 0xbbdd, v133
	v_sub_f16_e64 v137, v131, v118
	v_add_f16_e32 v102, v110, v102
	v_fma_f16 v112, v108, 0xbbdd, -v150
	v_add_f16_e64 v136, v118, v131
	v_fma_f16 v113, 0x31e1, v109, v153
	v_add_f16_e32 v110, v27, v38
	v_mul_f16_e64 v151, 0x3bb2, v137
	v_sub_f16_e32 v111, v38, v27
	v_mul_f16_e64 v155, 0xb461, v136
	v_add_f16_e32 v101, v112, v101
	v_add_f16_e32 v102, v113, v102
	v_sub_f16_e64 v139, v130, v120
	v_fma_f16 v113, v110, 0xb461, -v151
	v_add_f16_e64 v138, v120, v130
	v_fma_f16 v114, 0x3bb2, v111, v155
	v_add_f16_e32 v112, v36, v39
	v_mul_f16_e64 v152, 0x3964, v139
	v_add_f16_e32 v101, v113, v101
	v_sub_f16_e32 v113, v39, v36
	v_mul_f16_e64 v158, 0x39e9, v138
	v_sub_f16_e64 v141, v129, v121
	v_add_f16_e32 v102, v114, v102
	v_fma_f16 v116, v112, 0x39e9, -v152
	v_add_f16_e64 v140, v121, v129
	v_fma_f16 v119, 0x3964, v113, v158
	v_add_f16_e32 v114, v35, v40
	v_mul_f16_e64 v154, 0xb5c8, v141
	v_sub_f16_e32 v115, v40, v35
	v_mul_f16_e64 v160, 0x3b76, v140
	v_add_f16_e32 v101, v116, v101
	v_add_f16_e32 v102, v119, v102
	v_sub_f16_e64 v143, v106, v123
	v_fma_f16 v119, v114, 0x3b76, -v154
	v_add_f16_e64 v142, v123, v106
	v_fma_f16 v122, 0xb5c8, v115, v160
	v_add_f16_e32 v116, v32, v29
	v_mul_f16_e64 v156, 0xbbf7, v143
	v_add_f16_e32 v101, v119, v101
	v_sub_f16_e32 v119, v29, v32
	v_mul_f16_e64 v162, 0x2de8, v142
	v_sub_f16_e64 v145, v125, v124
	v_add_f16_e64 v144, v124, v125
	v_add_f16_e32 v102, v122, v102
	v_fma_f16 v164, v116, 0x2de8, -v156
	v_fma_f16 v165, 0xbbf7, v119, v162
	v_add_f16_e32 v122, v31, v30
	v_sub_f16_e32 v126, v30, v31
	v_mul_f16_e64 v157, 0xb836, v145
	v_mul_f16_e64 v163, 0xbacd, v144
	v_add_f16_e64 v101, v164, v101
	v_add_f16_e64 v102, v165, v102
	global_wb scope:SCOPE_SE
	v_fma_f16 v164, v122, 0xbacd, -v157
	v_fma_f16 v165, 0xb836, v126, v163
	s_barrier_signal -1
	s_barrier_wait -1
	global_inv scope:SCOPE_SE
	v_add_f16_e64 v101, v164, v101
	v_add_f16_e64 v102, v165, v102
	s_and_saveexec_b32 s1, vcc_lo
	s_cbranch_execz .LBB0_17
; %bb.16:
	v_add_f16_e32 v33, v33, v99
	v_and_b32_e32 v46, 0xffff, v46
	v_mul_f16_e64 v167, 0xb1e1, v107
	v_mul_f16_e64 v173, 0xb1e1, v132
	;; [unrolled: 1-line block ×3, first 2 shown]
	v_add_f16_e32 v33, v34, v33
	v_lshl_add_u32 v46, v46, 2, v43
	v_fma_f16 v168, v128, 0xbbdd, -v167
	v_fma_f16 v174, v103, 0xbbdd, -v173
	v_fmac_f16_e64 v173, 0xbbdd, v103
	v_add_f16_e32 v33, v37, v33
	v_fma_f16 v189, v103, 0x3722, -v188
	v_fmac_f16_e64 v188, 0x3722, v103
	v_mul_f16_e64 v196, 0x3bb2, v107
	v_mul_f16_e64 v208, 0x3bb2, v132
	v_add_f16_e32 v33, v38, v33
	v_mul_f16_e64 v38, 0xb964, v132
	s_delay_alu instid0(VALU_DEP_4) | instskip(NEXT) | instid1(VALU_DEP_4)
	v_fma_f16 v197, v128, 0xb461, -v196
	v_fma_f16 v209, v103, 0xb461, -v208
	s_delay_alu instid0(VALU_DEP_4) | instskip(SKIP_2) | instid1(VALU_DEP_3)
	v_add_f16_e32 v33, v39, v33
	v_mul_f16_e32 v39, 0xb5c8, v127
	v_fmac_f16_e64 v208, 0xb461, v103
	v_add_f16_e32 v33, v40, v33
	s_delay_alu instid0(VALU_DEP_1) | instskip(SKIP_1) | instid1(VALU_DEP_2)
	v_add_f16_e32 v29, v29, v33
	v_mul_f16_e64 v33, 0xbb29, v135
	v_add_f16_e32 v29, v30, v29
	s_delay_alu instid0(VALU_DEP_1) | instskip(SKIP_1) | instid1(VALU_DEP_2)
	v_add_f16_e32 v29, v31, v29
	v_mul_f16_e32 v31, 0x3b76, v117
	v_add_f16_e32 v29, v32, v29
	s_delay_alu instid0(VALU_DEP_1) | instskip(NEXT) | instid1(VALU_DEP_1)
	v_add_f16_e32 v29, v35, v29
	v_add_f16_e32 v29, v36, v29
	s_delay_alu instid0(VALU_DEP_1) | instskip(SKIP_2) | instid1(VALU_DEP_3)
	v_add_f16_e32 v27, v27, v29
	v_fmamk_f16 v29, v103, 0x39e9, v38
	v_fma_f16 v38, v103, 0x39e9, -v38
	v_add_f16_e32 v27, v28, v27
	s_delay_alu instid0(VALU_DEP_1) | instskip(NEXT) | instid1(VALU_DEP_1)
	v_add_f16_e32 v21, v21, v27
	v_add_f16_e64 v164, v22, v21
	v_add_f16_e64 v21, v146, v100
	v_mul_f16_e32 v22, 0xbb29, v105
	s_delay_alu instid0(VALU_DEP_2) | instskip(NEXT) | instid1(VALU_DEP_2)
	v_add_f16_e64 v21, v147, v21
	v_sub_f16_e64 v32, v159, v22
	v_mul_f16_e32 v22, 0xba62, v107
	v_mul_f16_e64 v147, 0xbbf7, v132
	s_delay_alu instid0(VALU_DEP_3) | instskip(NEXT) | instid1(VALU_DEP_3)
	v_add_f16_e32 v32, v100, v32
	v_sub_f16_e64 v40, v161, v22
	v_add_f16_e64 v22, v134, v21
	v_fmamk_f16 v21, v105, 0x35c8, v31
	v_fmac_f16_e32 v31, 0xb5c8, v105
	s_delay_alu instid0(VALU_DEP_4) | instskip(SKIP_1) | instid1(VALU_DEP_4)
	v_add_f16_e32 v40, v40, v32
	v_mul_f16_e32 v32, 0x31e1, v109
	v_add_f16_e32 v27, v100, v21
	v_mul_f16_e64 v21, 0x39e9, v128
	v_add_f16_e32 v31, v100, v31
	s_delay_alu instid0(VALU_DEP_2) | instskip(SKIP_1) | instid1(VALU_DEP_2)
	v_fmamk_f16 v28, v107, 0x3964, v21
	v_fmac_f16_e32 v21, 0xb964, v107
	v_add_f16_e32 v27, v28, v27
	v_add_f16_e64 v28, v131, v22
	v_fmamk_f16 v22, v104, 0x3b76, v39
	v_mul_f16_e64 v131, 0xb461, v140
	v_fma_f16 v39, v104, 0x3b76, -v39
	v_add_f16_e32 v21, v21, v31
	s_delay_alu instid0(VALU_DEP_4) | instskip(NEXT) | instid1(VALU_DEP_4)
	v_add_f16_e32 v22, v99, v22
	v_fma_f16 v134, 0xbbb2, v115, v131
	s_delay_alu instid0(VALU_DEP_4) | instskip(SKIP_1) | instid1(VALU_DEP_4)
	v_add_f16_e32 v39, v99, v39
	v_fmac_f16_e64 v131, 0x3bb2, v115
	v_add_f16_e32 v29, v29, v22
	v_mul_f16_e64 v22, 0x3722, v133
	s_delay_alu instid0(VALU_DEP_4) | instskip(NEXT) | instid1(VALU_DEP_2)
	v_add_f16_e32 v31, v38, v39
	v_fmamk_f16 v30, v109, 0x3b29, v22
	v_fmac_f16_e32 v22, 0xbb29, v109
	s_delay_alu instid0(VALU_DEP_2) | instskip(SKIP_4) | instid1(VALU_DEP_3)
	v_add_f16_e32 v30, v30, v27
	v_add_f16_e64 v27, v130, v28
	v_fmamk_f16 v28, v108, 0x3722, v33
	v_fma_f16 v33, v108, 0x3722, -v33
	v_add_f16_e32 v21, v22, v21
	v_add_f16_e32 v28, v28, v29
	v_add_f16_e64 v29, v129, v27
	v_mul_f16_e64 v27, 0x2de8, v136
	v_add_f16_e32 v22, v33, v31
	s_delay_alu instid0(VALU_DEP_3) | instskip(NEXT) | instid1(VALU_DEP_3)
	v_add_f16_e32 v29, v106, v29
	v_fmamk_f16 v34, v111, 0x3bf7, v27
	v_fmac_f16_e32 v27, 0xbbf7, v111
	s_delay_alu instid0(VALU_DEP_3) | instskip(NEXT) | instid1(VALU_DEP_3)
	v_add_f16_e32 v29, v125, v29
	v_add_f16_e32 v30, v34, v30
	v_mul_f16_e64 v34, 0xbbf7, v137
	v_mul_f16_e64 v125, 0x2de8, v128
	v_add_f16_e32 v21, v27, v21
	v_add_f16_e32 v29, v124, v29
	s_delay_alu instid0(VALU_DEP_4) | instskip(NEXT) | instid1(VALU_DEP_4)
	v_fmamk_f16 v35, v110, 0x2de8, v34
	v_fma_f16 v129, 0x3bf7, v107, v125
	v_fmac_f16_e32 v125, 0xbbf7, v107
	v_fma_f16 v33, v110, 0x2de8, -v34
	s_delay_alu instid0(VALU_DEP_4) | instskip(SKIP_1) | instid1(VALU_DEP_3)
	v_add_f16_e32 v36, v35, v28
	v_mul_f16_e64 v28, 0xb461, v138
	v_add_f16_e32 v22, v33, v22
	s_delay_alu instid0(VALU_DEP_2) | instskip(SKIP_1) | instid1(VALU_DEP_2)
	v_fmamk_f16 v35, v113, 0x3bb2, v28
	v_fmac_f16_e32 v28, 0xbbb2, v113
	v_add_f16_e32 v30, v35, v30
	v_mul_f16_e64 v35, 0xbbb2, v139
	s_delay_alu instid0(VALU_DEP_3) | instskip(NEXT) | instid1(VALU_DEP_2)
	v_add_f16_e32 v21, v28, v21
	v_fmamk_f16 v37, v112, 0xb461, v35
	v_fma_f16 v33, v112, 0xb461, -v35
	s_delay_alu instid0(VALU_DEP_2) | instskip(SKIP_2) | instid1(VALU_DEP_4)
	v_add_f16_e32 v37, v37, v36
	v_add_f16_e32 v36, v123, v29
	v_mul_f16_e64 v29, 0xb8d2, v140
	v_add_f16_e32 v22, v33, v22
	s_delay_alu instid0(VALU_DEP_2) | instskip(SKIP_1) | instid1(VALU_DEP_2)
	v_fmamk_f16 v106, v115, 0x3a62, v29
	v_fmac_f16_e32 v29, 0xba62, v115
	v_add_f16_e32 v106, v106, v30
	v_add_f16_e32 v30, v121, v36
	v_mul_f16_e64 v36, 0xba62, v141
	s_delay_alu instid0(VALU_DEP_4) | instskip(NEXT) | instid1(VALU_DEP_2)
	v_add_f16_e32 v21, v29, v21
	v_fmamk_f16 v121, v114, 0xb8d2, v36
	s_delay_alu instid0(VALU_DEP_1) | instskip(SKIP_2) | instid1(VALU_DEP_2)
	v_add_f16_e32 v121, v121, v37
	v_add_f16_e32 v37, v120, v30
	v_mul_f16_e64 v30, 0xbacd, v142
	v_add_f16_e32 v118, v118, v37
	s_delay_alu instid0(VALU_DEP_2) | instskip(SKIP_2) | instid1(VALU_DEP_4)
	v_fmamk_f16 v120, v119, 0x3836, v30
	v_mul_f16_e64 v37, 0xb836, v143
	v_fmac_f16_e32 v30, 0xb836, v119
	v_add_f16_e32 v98, v98, v118
	v_sub_f16_e64 v118, v153, v32
	v_add_f16_e32 v106, v120, v106
	v_fmamk_f16 v120, v116, 0xbacd, v37
	v_mul_f16_e64 v32, 0xbbdd, v144
	v_add_f16_e32 v48, v48, v98
	v_mul_f16_e32 v98, 0x3bb2, v111
	v_add_f16_e32 v40, v118, v40
	v_add_f16_e32 v120, v120, v121
	v_fmamk_f16 v121, v126, 0x31e1, v32
	v_mul_f16_e32 v118, 0x3722, v104
	v_sub_f16_e64 v98, v155, v98
	v_add_f16_e32 v47, v47, v48
	v_fma_f16 v29, v116, 0xbacd, -v37
	v_add_f16_e32 v106, v121, v106
	v_add_f16_e64 v118, v118, v148
	v_add_f16_e32 v40, v98, v40
	v_mul_f16_e32 v98, 0x3964, v113
	v_mul_f16_e32 v121, 0xb8d2, v103
	v_fma_f16 v148, 0x2de8, v103, v147
	v_add_f16_e32 v118, v99, v118
	v_pack_b32_f16 v47, v164, v47
	v_sub_f16_e64 v98, v158, v98
	v_add_f16_e64 v121, v121, v149
	v_add_f16_e32 v21, v30, v21
	v_fmac_f16_e32 v32, 0xb1e1, v126
	s_delay_alu instid0(VALU_DEP_4) | instskip(SKIP_4) | instid1(VALU_DEP_4)
	v_add_f16_e32 v40, v98, v40
	v_mul_f16_e32 v98, 0xb5c8, v115
	v_add_f16_e32 v118, v121, v118
	v_mul_f16_e32 v121, 0xbbdd, v108
	v_add_f16_e32 v21, v32, v21
	v_sub_f16_e64 v98, v160, v98
	s_delay_alu instid0(VALU_DEP_3) | instskip(NEXT) | instid1(VALU_DEP_2)
	v_add_f16_e64 v121, v121, v150
	v_add_f16_e32 v98, v98, v40
	v_mul_f16_e32 v40, 0xbbf7, v119
	s_delay_alu instid0(VALU_DEP_3) | instskip(NEXT) | instid1(VALU_DEP_2)
	v_add_f16_e32 v118, v121, v118
	v_sub_f16_e64 v123, v162, v40
	v_mul_f16_e32 v40, 0xb461, v110
	s_delay_alu instid0(VALU_DEP_2) | instskip(NEXT) | instid1(VALU_DEP_2)
	v_add_f16_e32 v48, v123, v98
	v_add_f16_e64 v121, v40, v151
	v_mul_f16_e64 v40, 0xb1e1, v145
	v_mul_f16_e32 v123, 0x39e9, v117
	s_delay_alu instid0(VALU_DEP_3) | instskip(SKIP_1) | instid1(VALU_DEP_4)
	v_add_f16_e32 v98, v121, v118
	v_mul_f16_e32 v118, 0x39e9, v112
	v_fmamk_f16 v124, v122, 0xbbdd, v40
	v_mul_f16_e32 v121, 0xb836, v126
	s_delay_alu instid0(VALU_DEP_3) | instskip(NEXT) | instid1(VALU_DEP_3)
	v_add_f16_e64 v118, v118, v152
	v_add_f16_e32 v120, v124, v120
	s_delay_alu instid0(VALU_DEP_3)
	v_sub_f16_e64 v121, v163, v121
	v_fmamk_f16 v124, v105, 0x3964, v123
	v_fmac_f16_e32 v123, 0xb964, v105
	v_add_f16_e32 v98, v118, v98
	v_mul_f16_e32 v118, 0x3b76, v114
	v_add_f16_e32 v48, v121, v48
	v_add_f16_e32 v124, v100, v124
	v_mul_f16_e64 v121, 0xb8d2, v133
	v_pack_b32_f16 v106, v120, v106
	v_add_f16_e64 v118, v118, v154
	v_mul_f16_e32 v120, 0x3836, v107
	v_add_f16_e64 v124, v129, v124
	v_fma_f16 v129, 0x3a62, v109, v121
	v_fmac_f16_e32 v121, 0xba62, v109
	v_add_f16_e32 v98, v118, v98
	v_mul_f16_e32 v118, 0x2de8, v116
	s_delay_alu instid0(VALU_DEP_4) | instskip(SKIP_1) | instid1(VALU_DEP_3)
	v_add_f16_e64 v124, v129, v124
	v_mul_f16_e64 v129, 0xbbdd, v136
	v_add_f16_e64 v118, v118, v156
	s_delay_alu instid0(VALU_DEP_2) | instskip(SKIP_1) | instid1(VALU_DEP_3)
	v_fma_f16 v130, 0x31e1, v111, v129
	v_fmac_f16_e64 v129, 0xb1e1, v111
	v_add_f16_e32 v98, v118, v98
	v_mul_f16_e64 v118, 0xbacd, v138
	s_delay_alu instid0(VALU_DEP_4) | instskip(NEXT) | instid1(VALU_DEP_2)
	v_add_f16_e64 v124, v130, v124
	v_fma_f16 v130, 0xb836, v113, v118
	v_fmac_f16_e32 v118, 0x3836, v113
	s_delay_alu instid0(VALU_DEP_2) | instskip(SKIP_1) | instid1(VALU_DEP_2)
	v_add_f16_e64 v124, v130, v124
	v_mul_f16_e64 v130, 0xbacd, v122
	v_add_f16_e64 v124, v134, v124
	v_mul_f16_e64 v134, 0xb964, v127
	s_delay_alu instid0(VALU_DEP_3) | instskip(SKIP_2) | instid1(VALU_DEP_4)
	v_add_f16_e64 v130, v130, v157
	v_mul_f16_e64 v157, 0x3836, v132
	v_mul_f16_e64 v132, 0x35c8, v132
	v_fma_f16 v146, 0x39e9, v104, v134
	s_delay_alu instid0(VALU_DEP_4)
	v_add_f16_e64 v98, v130, v98
	v_mul_f16_e64 v130, 0x3722, v142
	v_fma_f16 v158, v103, 0xbacd, -v157
	v_fmac_f16_e64 v157, 0xbacd, v103
	v_add_f16_e64 v146, v99, v146
	v_pack_b32_f16 v48, v98, v48
	s_delay_alu instid0(VALU_DEP_2) | instskip(SKIP_2) | instid1(VALU_DEP_2)
	v_add_f16_e64 v146, v148, v146
	v_fma_f16 v148, 0xbb29, v119, v130
	v_fmac_f16_e64 v130, 0x3b29, v119
	v_add_f16_e64 v124, v148, v124
	v_mul_f16_e64 v148, 0xba62, v135
	s_delay_alu instid0(VALU_DEP_1) | instskip(SKIP_1) | instid1(VALU_DEP_2)
	v_fma_f16 v149, 0xb8d2, v108, v148
	v_fma_f16 v38, v108, 0xb8d2, -v148
	v_add_f16_e64 v146, v149, v146
	v_mul_f16_e64 v149, 0xb1e1, v137
	s_delay_alu instid0(VALU_DEP_1) | instskip(SKIP_1) | instid1(VALU_DEP_2)
	v_fma_f16 v150, 0xbbdd, v110, v149
	v_fma_f16 v31, v110, 0xbbdd, -v149
	;; [unrolled: 5-line block ×4, first 2 shown]
	v_add_f16_e64 v146, v152, v146
	v_mul_f16_e64 v152, 0x3b76, v144
	s_delay_alu instid0(VALU_DEP_1) | instskip(SKIP_1) | instid1(VALU_DEP_2)
	v_fma_f16 v153, 0xb5c8, v126, v152
	v_fmac_f16_e64 v152, 0x35c8, v126
	v_add_f16_e64 v124, v153, v124
	v_mul_f16_e64 v153, 0x3b29, v143
	s_delay_alu instid0(VALU_DEP_1) | instskip(NEXT) | instid1(VALU_DEP_1)
	v_fma_f16 v154, 0x3722, v116, v153
	v_add_f16_e64 v146, v154, v146
	v_mul_f16_e64 v154, 0x35c8, v145
	s_delay_alu instid0(VALU_DEP_1) | instskip(NEXT) | instid1(VALU_DEP_1)
	v_fma_f16 v155, 0x3b76, v122, v154
	v_add_f16_e64 v146, v155, v146
	s_delay_alu instid0(VALU_DEP_1)
	v_pack_b32_f16 v98, v146, v124
	ds_store_2addr_b32 v46, v47, v106 offset1:1
	v_mul_f16_e32 v47, 0xbbb2, v105
	v_fma_f16 v124, v128, 0xbacd, -v120
	v_fma_f16 v120, 0xbacd, v128, v120
	ds_store_2addr_b32 v46, v98, v48 offset0:2 offset1:3
	v_mul_f16_e32 v48, 0xb836, v105
	v_fma_f16 v106, v117, 0xb461, -v47
	v_fmamk_f16 v47, v117, 0xb461, v47
	s_delay_alu instid0(VALU_DEP_3) | instskip(NEXT) | instid1(VALU_DEP_3)
	v_fma_f16 v98, v117, 0xbacd, -v48
	v_add_f16_e32 v106, v100, v106
	s_delay_alu instid0(VALU_DEP_3) | instskip(SKIP_1) | instid1(VALU_DEP_4)
	v_add_f16_e32 v47, v100, v47
	v_fmamk_f16 v48, v117, 0xbacd, v48
	v_add_f16_e32 v98, v100, v98
	s_delay_alu instid0(VALU_DEP_4) | instskip(SKIP_3) | instid1(VALU_DEP_3)
	v_add_f16_e32 v106, v124, v106
	v_mul_f16_e32 v124, 0x3964, v109
	v_add_f16_e32 v47, v120, v47
	v_add_f16_e32 v48, v100, v48
	v_fma_f16 v146, v133, 0x39e9, -v124
	v_fma_f16 v120, 0x39e9, v133, v124
	s_delay_alu instid0(VALU_DEP_2) | instskip(SKIP_1) | instid1(VALU_DEP_3)
	v_add_f16_e64 v106, v146, v106
	v_mul_f16_e64 v146, 0xbb29, v111
	v_add_f16_e32 v47, v120, v47
	s_delay_alu instid0(VALU_DEP_2) | instskip(NEXT) | instid1(VALU_DEP_1)
	v_fma_f16 v155, v136, 0x3722, -v146
	v_add_f16_e64 v106, v155, v106
	v_mul_f16_e64 v155, 0xbbb2, v127
	s_delay_alu instid0(VALU_DEP_1) | instskip(SKIP_1) | instid1(VALU_DEP_1)
	v_fma_f16 v156, v104, 0xb461, -v155
	v_fmac_f16_e64 v155, 0xb461, v104
	v_add_f16_e64 v155, v99, v155
	s_delay_alu instid0(VALU_DEP_1) | instskip(SKIP_1) | instid1(VALU_DEP_1)
	v_add_f16_e64 v155, v157, v155
	v_mul_f16_e64 v157, 0xb1e1, v113
	v_fma_f16 v159, v138, 0xbbdd, -v157
	v_fma_f16 v124, 0xbbdd, v138, v157
	s_delay_alu instid0(VALU_DEP_2) | instskip(SKIP_1) | instid1(VALU_DEP_1)
	v_add_f16_e64 v106, v159, v106
	v_mul_f16_e64 v159, 0x3964, v135
	v_fma_f16 v160, v108, 0x39e9, -v159
	v_fmac_f16_e64 v159, 0x39e9, v108
	s_delay_alu instid0(VALU_DEP_1) | instskip(SKIP_1) | instid1(VALU_DEP_1)
	v_add_f16_e64 v155, v159, v155
	v_mul_f16_e64 v159, 0x3bf7, v115
	v_fma_f16 v161, v140, 0x2de8, -v159
	s_delay_alu instid0(VALU_DEP_1) | instskip(SKIP_1) | instid1(VALU_DEP_1)
	v_add_f16_e64 v106, v161, v106
	v_mul_f16_e64 v161, 0xbb29, v137
	v_fma_f16 v162, v110, 0x3722, -v161
	v_fmac_f16_e64 v161, 0x3722, v110
	s_delay_alu instid0(VALU_DEP_1) | instskip(SKIP_1) | instid1(VALU_DEP_1)
	v_add_f16_e64 v155, v161, v155
	v_mul_f16_e64 v161, 0xb5c8, v119
	v_fma_f16 v163, v142, 0x3b76, -v161
	s_delay_alu instid0(VALU_DEP_1) | instskip(SKIP_1) | instid1(VALU_DEP_1)
	;; [unrolled: 9-line block ×3, first 2 shown]
	v_add_f16_e64 v106, v165, v106
	v_mul_f16_e64 v165, 0xbbf7, v105
	v_fma_f16 v166, v117, 0x2de8, -v165
	s_delay_alu instid0(VALU_DEP_1) | instskip(NEXT) | instid1(VALU_DEP_1)
	v_add_f16_e64 v166, v100, v166
	v_add_f16_e64 v166, v168, v166
	v_mul_f16_e64 v168, 0x3bf7, v141
	s_delay_alu instid0(VALU_DEP_1) | instskip(SKIP_1) | instid1(VALU_DEP_1)
	v_fma_f16 v169, v114, 0x2de8, -v168
	v_fmac_f16_e64 v168, 0x2de8, v114
	v_add_f16_e64 v155, v168, v155
	v_mul_f16_e64 v168, 0x3bb2, v109
	s_delay_alu instid0(VALU_DEP_1) | instskip(NEXT) | instid1(VALU_DEP_1)
	v_fma_f16 v170, v133, 0xb461, -v168
	v_add_f16_e64 v166, v170, v166
	v_mul_f16_e64 v170, 0xb5c8, v143
	s_delay_alu instid0(VALU_DEP_1) | instskip(SKIP_1) | instid1(VALU_DEP_1)
	v_fma_f16 v171, v116, 0x3b76, -v170
	v_fmac_f16_e64 v170, 0x3b76, v116
	v_add_f16_e64 v155, v170, v155
	v_mul_f16_e64 v170, 0xbbf7, v127
	s_delay_alu instid0(VALU_DEP_1) | instskip(SKIP_1) | instid1(VALU_DEP_1)
	v_fma_f16 v172, v104, 0x2de8, -v170
	v_fmac_f16_e64 v170, 0x2de8, v104
	v_add_f16_e64 v170, v99, v170
	s_delay_alu instid0(VALU_DEP_1) | instskip(SKIP_1) | instid1(VALU_DEP_1)
	v_add_f16_e64 v170, v173, v170
	v_mul_f16_e64 v173, 0x35c8, v111
	v_fma_f16 v175, v136, 0x3b76, -v173
	s_delay_alu instid0(VALU_DEP_1) | instskip(SKIP_1) | instid1(VALU_DEP_1)
	v_add_f16_e64 v166, v175, v166
	v_mul_f16_e64 v175, 0xba62, v145
	v_fma_f16 v176, v122, 0xb8d2, -v175
	v_fmac_f16_e64 v175, 0xb8d2, v122
	s_delay_alu instid0(VALU_DEP_1) | instskip(SKIP_1) | instid1(VALU_DEP_2)
	v_add_f16_e64 v155, v175, v155
	v_mul_f16_e64 v175, 0x3bb2, v135
	v_pack_b32_f16 v106, v155, v106
	s_delay_alu instid0(VALU_DEP_2) | instskip(SKIP_1) | instid1(VALU_DEP_1)
	v_fma_f16 v177, v108, 0xb461, -v175
	v_fmac_f16_e64 v175, 0xb461, v108
	v_add_f16_e64 v170, v175, v170
	v_mul_f16_e64 v175, 0xbb29, v113
	s_delay_alu instid0(VALU_DEP_1) | instskip(NEXT) | instid1(VALU_DEP_1)
	v_fma_f16 v178, v138, 0x3722, -v175
	v_add_f16_e64 v166, v178, v166
	v_mul_f16_e64 v178, 0x35c8, v137
	s_delay_alu instid0(VALU_DEP_1) | instskip(SKIP_1) | instid1(VALU_DEP_1)
	v_fma_f16 v179, v110, 0x3b76, -v178
	v_fmac_f16_e64 v178, 0x3b76, v110
	v_add_f16_e64 v170, v178, v170
	v_mul_f16_e64 v178, 0xb836, v115
	s_delay_alu instid0(VALU_DEP_1) | instskip(NEXT) | instid1(VALU_DEP_1)
	v_fma_f16 v180, v140, 0xbacd, -v178
	v_add_f16_e64 v166, v180, v166
	v_mul_f16_e64 v180, 0xbb29, v139
	s_delay_alu instid0(VALU_DEP_1) | instskip(SKIP_1) | instid1(VALU_DEP_1)
	v_fma_f16 v181, v112, 0x3722, -v180
	v_fmac_f16_e64 v180, 0x3722, v112
	v_add_f16_e64 v170, v180, v170
	v_mul_f16_e64 v180, 0x3a62, v119
	s_delay_alu instid0(VALU_DEP_1) | instskip(NEXT) | instid1(VALU_DEP_1)
	v_fma_f16 v182, v142, 0xb8d2, -v180
	v_add_f16_e64 v166, v182, v166
	v_mul_f16_e64 v182, 0xb836, v141
	s_delay_alu instid0(VALU_DEP_1) | instskip(SKIP_1) | instid1(VALU_DEP_1)
	v_fma_f16 v183, v114, 0xbacd, -v182
	v_fmac_f16_e64 v182, 0xbacd, v114
	v_add_f16_e64 v170, v182, v170
	v_mul_f16_e64 v182, 0x3964, v126
	s_delay_alu instid0(VALU_DEP_1) | instskip(SKIP_1) | instid1(VALU_DEP_2)
	v_fma_f16 v184, v144, 0x39e9, -v182
	v_fma_f16 v120, 0x39e9, v144, v182
	v_add_f16_e64 v166, v184, v166
	v_mul_f16_e64 v184, 0x3a62, v143
	s_delay_alu instid0(VALU_DEP_1) | instskip(SKIP_1) | instid1(VALU_DEP_1)
	v_fma_f16 v185, v116, 0xb8d2, -v184
	v_fmac_f16_e64 v184, 0xb8d2, v116
	v_add_f16_e64 v170, v184, v170
	v_mul_f16_e64 v184, 0x3964, v145
	s_delay_alu instid0(VALU_DEP_1) | instskip(SKIP_1) | instid1(VALU_DEP_1)
	v_fma_f16 v186, v122, 0x39e9, -v184
	v_fmac_f16_e64 v184, 0x39e9, v122
	v_add_f16_e64 v170, v184, v170
	s_delay_alu instid0(VALU_DEP_1) | instskip(SKIP_1) | instid1(VALU_DEP_1)
	v_pack_b32_f16 v155, v170, v166
	v_mul_f16_e64 v166, 0x3b29, v107
	v_fma_f16 v170, v128, 0x3722, -v166
	s_delay_alu instid0(VALU_DEP_1) | instskip(SKIP_1) | instid1(VALU_DEP_1)
	v_add_f16_e64 v98, v170, v98
	v_mul_f16_e64 v170, 0xbbf7, v109
	v_fma_f16 v184, v133, 0x2de8, -v170
	s_delay_alu instid0(VALU_DEP_1) | instskip(SKIP_1) | instid1(VALU_DEP_1)
	v_add_f16_e64 v98, v184, v98
	v_mul_f16_e64 v184, 0xb836, v127
	v_fma_f16 v187, v104, 0xbacd, -v184
	v_fmac_f16_e64 v184, 0xbacd, v104
	s_delay_alu instid0(VALU_DEP_1) | instskip(NEXT) | instid1(VALU_DEP_1)
	v_add_f16_e64 v184, v99, v184
	v_add_f16_e64 v184, v188, v184
	v_mul_f16_e64 v188, 0x3a62, v111
	s_delay_alu instid0(VALU_DEP_1) | instskip(NEXT) | instid1(VALU_DEP_1)
	v_fma_f16 v190, v136, 0xb8d2, -v188
	v_add_f16_e64 v98, v190, v98
	v_mul_f16_e64 v190, 0xbbf7, v135
	s_delay_alu instid0(VALU_DEP_1) | instskip(SKIP_1) | instid1(VALU_DEP_1)
	v_fma_f16 v191, v108, 0x2de8, -v190
	v_fmac_f16_e64 v190, 0x2de8, v108
	v_add_f16_e64 v184, v190, v184
	v_mul_f16_e64 v190, 0xb5c8, v113
	s_delay_alu instid0(VALU_DEP_1) | instskip(NEXT) | instid1(VALU_DEP_1)
	v_fma_f16 v192, v138, 0x3b76, -v190
	v_add_f16_e64 v98, v192, v98
	v_mul_f16_e64 v192, 0x3a62, v137
	s_delay_alu instid0(VALU_DEP_1) | instskip(SKIP_1) | instid1(VALU_DEP_1)
	v_fma_f16 v193, v110, 0xb8d2, -v192
	v_fmac_f16_e64 v192, 0xb8d2, v110
	v_add_f16_e64 v184, v192, v184
	v_mul_f16_e64 v192, 0xb1e1, v115
	s_delay_alu instid0(VALU_DEP_1) | instskip(NEXT) | instid1(VALU_DEP_1)
	v_fma_f16 v194, v140, 0xbbdd, -v192
	v_add_f16_e64 v98, v194, v98
	v_mul_f16_e64 v194, 0xba62, v105
	s_delay_alu instid0(VALU_DEP_1) | instskip(NEXT) | instid1(VALU_DEP_1)
	v_fma_f16 v195, v117, 0xb8d2, -v194
	v_add_f16_e64 v195, v100, v195
	s_delay_alu instid0(VALU_DEP_1) | instskip(SKIP_1) | instid1(VALU_DEP_1)
	v_add_f16_e64 v195, v197, v195
	v_mul_f16_e64 v197, 0xb5c8, v139
	v_fma_f16 v198, v112, 0x3b76, -v197
	v_fmac_f16_e64 v197, 0x3b76, v112
	s_delay_alu instid0(VALU_DEP_1) | instskip(SKIP_1) | instid1(VALU_DEP_1)
	v_add_f16_e64 v184, v197, v184
	v_mul_f16_e64 v197, 0x3964, v119
	v_fma_f16 v199, v142, 0x39e9, -v197
	s_delay_alu instid0(VALU_DEP_1) | instskip(SKIP_1) | instid1(VALU_DEP_1)
	v_add_f16_e64 v98, v199, v98
	v_mul_f16_e64 v199, 0xb5c8, v109
	v_fma_f16 v200, v133, 0x3b76, -v199
	s_delay_alu instid0(VALU_DEP_1) | instskip(SKIP_1) | instid1(VALU_DEP_1)
	v_add_f16_e64 v195, v200, v195
	v_mul_f16_e64 v200, 0xb1e1, v141
	v_fma_f16 v201, v114, 0xbbdd, -v200
	v_fmac_f16_e64 v200, 0xbbdd, v114
	s_delay_alu instid0(VALU_DEP_1) | instskip(SKIP_1) | instid1(VALU_DEP_1)
	v_add_f16_e64 v184, v200, v184
	v_mul_f16_e64 v200, 0xbbb2, v126
	v_fma_f16 v202, v144, 0xb461, -v200
	s_delay_alu instid0(VALU_DEP_1) | instskip(SKIP_1) | instid1(VALU_DEP_1)
	v_add_f16_e64 v98, v202, v98
	v_mul_f16_e64 v202, 0xb836, v111
	v_fma_f16 v203, v136, 0xbacd, -v202
	;; [unrolled: 13-line block ×3, first 2 shown]
	v_fmac_f16_e64 v205, 0xb461, v122
	s_delay_alu instid0(VALU_DEP_1) | instskip(SKIP_2) | instid1(VALU_DEP_3)
	v_add_f16_e64 v184, v205, v184
	v_mul_f16_e64 v205, 0xba62, v127
	v_mul_f16_e32 v127, 0xb1e1, v127
	v_pack_b32_f16 v98, v184, v98
	s_delay_alu instid0(VALU_DEP_3) | instskip(SKIP_1) | instid1(VALU_DEP_1)
	v_fma_f16 v207, v104, 0xb8d2, -v205
	v_fmac_f16_e64 v205, 0xb8d2, v104
	v_add_f16_e64 v205, v99, v205
	s_delay_alu instid0(VALU_DEP_1) | instskip(SKIP_1) | instid1(VALU_DEP_1)
	v_add_f16_e64 v205, v208, v205
	v_mul_f16_e64 v208, 0xb964, v115
	v_fma_f16 v210, v140, 0x39e9, -v208
	s_delay_alu instid0(VALU_DEP_1) | instskip(SKIP_2) | instid1(VALU_DEP_2)
	v_add_f16_e64 v195, v210, v195
	v_mul_f16_e64 v210, 0xb5c8, v135
	v_mul_f16_e64 v135, 0xb836, v135
	v_fma_f16 v211, v108, 0x3b76, -v210
	v_fmac_f16_e64 v210, 0x3b76, v108
	s_delay_alu instid0(VALU_DEP_1) | instskip(SKIP_1) | instid1(VALU_DEP_1)
	v_add_f16_e64 v205, v210, v205
	v_mul_f16_e64 v210, 0xb1e1, v119
	v_fma_f16 v212, v142, 0xbbdd, -v210
	s_delay_alu instid0(VALU_DEP_1) | instskip(SKIP_2) | instid1(VALU_DEP_2)
	v_add_f16_e64 v195, v212, v195
	v_mul_f16_e64 v212, 0xb836, v137
	v_mul_f16_e64 v137, 0x3964, v137
	v_fma_f16 v213, v110, 0xbacd, -v212
	v_fmac_f16_e64 v212, 0xbacd, v110
	s_delay_alu instid0(VALU_DEP_1) | instskip(SKIP_1) | instid1(VALU_DEP_1)
	v_add_f16_e64 v205, v212, v205
	v_mul_f16_e64 v212, 0x3b29, v126
	v_fma_f16 v214, v144, 0x3722, -v212
	s_delay_alu instid0(VALU_DEP_1) | instskip(SKIP_1) | instid1(VALU_DEP_1)
	v_add_f16_e64 v195, v214, v195
	v_mul_f16_e64 v214, 0x3bf7, v139
	v_fma_f16 v215, v112, 0x2de8, -v214
	v_fmac_f16_e64 v214, 0x2de8, v112
	s_delay_alu instid0(VALU_DEP_1) | instskip(SKIP_1) | instid1(VALU_DEP_1)
	v_add_f16_e64 v205, v214, v205
	v_mul_f16_e64 v214, 0xb964, v141
	v_fma_f16 v216, v114, 0x39e9, -v214
	v_fmac_f16_e64 v214, 0x39e9, v114
	;; [unrolled: 5-line block ×4, first 2 shown]
	s_delay_alu instid0(VALU_DEP_1) | instskip(NEXT) | instid1(VALU_DEP_1)
	v_add_f16_e64 v205, v214, v205
	v_pack_b32_f16 v184, v205, v195
	ds_store_2addr_b32 v46, v155, v106 offset0:4 offset1:5
	ds_store_2addr_b32 v46, v184, v98 offset0:6 offset1:7
	v_fma_f16 v98, 0x2de8, v117, v165
	v_fma_f16 v106, 0xbbdd, v128, v167
	v_fma_f16 v155, 0x3722, v138, v175
	s_delay_alu instid0(VALU_DEP_3) | instskip(NEXT) | instid1(VALU_DEP_1)
	v_add_f16_e32 v98, v100, v98
	v_add_f16_e32 v98, v106, v98
	v_fma_f16 v106, 0xb461, v133, v168
	s_delay_alu instid0(VALU_DEP_1) | instskip(SKIP_1) | instid1(VALU_DEP_1)
	v_add_f16_e32 v98, v106, v98
	v_fma_f16 v106, 0x3b76, v136, v173
	v_add_f16_e32 v98, v106, v98
	v_add_f16_e64 v106, v99, v172
	s_delay_alu instid0(VALU_DEP_2) | instskip(SKIP_1) | instid1(VALU_DEP_3)
	v_add_f16_e64 v98, v155, v98
	v_fma_f16 v155, 0xbacd, v140, v178
	v_add_f16_e64 v106, v174, v106
	s_delay_alu instid0(VALU_DEP_2) | instskip(SKIP_1) | instid1(VALU_DEP_3)
	v_add_f16_e64 v98, v155, v98
	v_fma_f16 v155, 0xb8d2, v142, v180
	;; [unrolled: 4-line block ×3, first 2 shown]
	v_add_f16_e64 v106, v179, v106
	s_delay_alu instid0(VALU_DEP_3) | instskip(SKIP_2) | instid1(VALU_DEP_4)
	v_add_f16_e32 v98, v120, v98
	v_fma_f16 v120, 0x3722, v136, v146
	v_fma_f16 v146, 0xb461, v128, v196
	v_add_f16_e64 v106, v181, v106
	s_delay_alu instid0(VALU_DEP_3) | instskip(SKIP_2) | instid1(VALU_DEP_4)
	v_add_f16_e32 v47, v120, v47
	v_add_f16_e64 v120, v99, v156
	v_fma_f16 v156, 0x3b76, v138, v190
	v_add_f16_e64 v106, v183, v106
	s_delay_alu instid0(VALU_DEP_4) | instskip(SKIP_4) | instid1(VALU_DEP_4)
	v_add_f16_e32 v47, v124, v47
	v_fma_f16 v124, 0x2de8, v140, v159
	v_add_f16_e64 v120, v158, v120
	v_mul_f16_e64 v158, 0x35c8, v107
	v_add_f16_e64 v106, v185, v106
	v_add_f16_e32 v47, v124, v47
	v_fma_f16 v124, 0x3b76, v142, v161
	s_delay_alu instid0(VALU_DEP_4) | instskip(SKIP_2) | instid1(VALU_DEP_4)
	v_fma_f16 v159, 0x3b76, v128, v158
	v_add_f16_e64 v120, v160, v120
	v_add_f16_e64 v106, v186, v106
	v_add_f16_e32 v47, v124, v47
	v_fma_f16 v124, 0xb8d2, v117, v194
	s_delay_alu instid0(VALU_DEP_4) | instskip(NEXT) | instid1(VALU_DEP_2)
	v_add_f16_e64 v120, v162, v120
	v_add_f16_e32 v124, v100, v124
	s_delay_alu instid0(VALU_DEP_2) | instskip(SKIP_2) | instid1(VALU_DEP_4)
	v_add_f16_e64 v120, v164, v120
	v_fma_f16 v164, v103, 0x3b76, -v132
	v_fmac_f16_e64 v132, 0x3b76, v103
	v_add_f16_e64 v124, v146, v124
	v_fma_f16 v146, 0x3b76, v133, v199
	v_add_f16_e64 v120, v169, v120
	s_delay_alu instid0(VALU_DEP_2) | instskip(SKIP_1) | instid1(VALU_DEP_3)
	v_add_f16_e64 v124, v146, v124
	v_fma_f16 v146, 0xb8d2, v144, v163
	v_add_f16_e64 v120, v171, v120
	s_delay_alu instid0(VALU_DEP_2) | instskip(SKIP_1) | instid1(VALU_DEP_3)
	v_add_f16_e64 v47, v146, v47
	v_fma_f16 v146, 0xbacd, v136, v202
	v_add_f16_e64 v120, v176, v120
	s_delay_alu instid0(VALU_DEP_2) | instskip(SKIP_1) | instid1(VALU_DEP_2)
	v_add_f16_e64 v124, v146, v124
	v_add_f16_e64 v146, v99, v207
	;; [unrolled: 1-line block ×3, first 2 shown]
	v_fma_f16 v155, 0x39e9, v140, v208
	s_delay_alu instid0(VALU_DEP_3) | instskip(NEXT) | instid1(VALU_DEP_2)
	v_add_f16_e64 v146, v209, v146
	v_add_f16_e64 v124, v155, v124
	v_fma_f16 v155, 0xbbdd, v142, v210
	s_delay_alu instid0(VALU_DEP_3) | instskip(NEXT) | instid1(VALU_DEP_2)
	v_add_f16_e64 v146, v211, v146
	v_add_f16_e64 v124, v155, v124
	v_fma_f16 v155, 0x3722, v128, v166
	v_fma_f16 v128, v128, 0x3b76, -v158
	v_fma_f16 v158, v110, 0x39e9, -v137
	v_fmac_f16_e64 v137, 0x39e9, v110
	v_add_f16_e64 v146, v213, v146
	v_add_f16_e64 v48, v155, v48
	v_fma_f16 v155, 0x2de8, v133, v170
	s_delay_alu instid0(VALU_DEP_3) | instskip(NEXT) | instid1(VALU_DEP_2)
	v_add_f16_e64 v146, v215, v146
	v_add_f16_e64 v48, v155, v48
	v_fma_f16 v155, 0x3722, v144, v212
	s_delay_alu instid0(VALU_DEP_3) | instskip(NEXT) | instid1(VALU_DEP_2)
	;; [unrolled: 4-line block ×3, first 2 shown]
	v_add_f16_e64 v146, v217, v146
	v_add_f16_e64 v48, v155, v48
	;; [unrolled: 1-line block ×3, first 2 shown]
	s_delay_alu instid0(VALU_DEP_3) | instskip(NEXT) | instid1(VALU_DEP_3)
	v_add_f16_e64 v146, v218, v146
	v_add_f16_e64 v48, v156, v48
	v_fma_f16 v156, 0xbbdd, v140, v192
	s_delay_alu instid0(VALU_DEP_4) | instskip(NEXT) | instid1(VALU_DEP_2)
	v_add_f16_e64 v155, v189, v155
	v_add_f16_e64 v48, v156, v48
	v_fma_f16 v156, 0x39e9, v142, v197
	s_delay_alu instid0(VALU_DEP_3) | instskip(NEXT) | instid1(VALU_DEP_2)
	v_add_f16_e64 v155, v191, v155
	v_add_f16_e64 v48, v156, v48
	v_mul_f16_e64 v156, 0xb1e1, v105
	v_fma_f16 v105, v104, 0x39e9, -v134
	s_delay_alu instid0(VALU_DEP_4) | instskip(NEXT) | instid1(VALU_DEP_3)
	v_add_f16_e64 v155, v193, v155
	v_fma_f16 v157, 0xbbdd, v117, v156
	v_fma_f16 v117, v117, 0xbbdd, -v156
	v_fma_f16 v156, v108, 0xbacd, -v135
	v_fmac_f16_e64 v135, 0xbacd, v108
	v_add_f16_e64 v155, v198, v155
	v_add_f16_e64 v157, v100, v157
	v_add_f16_e32 v117, v100, v117
	s_delay_alu instid0(VALU_DEP_3) | instskip(NEXT) | instid1(VALU_DEP_3)
	v_add_f16_e64 v155, v201, v155
	v_add_f16_e64 v157, v159, v157
	v_mul_f16_e64 v159, 0xb836, v109
	s_delay_alu instid0(VALU_DEP_4) | instskip(NEXT) | instid1(VALU_DEP_4)
	v_add_f16_e64 v117, v128, v117
	v_add_f16_e64 v155, v204, v155
	s_delay_alu instid0(VALU_DEP_3) | instskip(SKIP_2) | instid1(VALU_DEP_4)
	v_fma_f16 v160, 0xbacd, v133, v159
	v_fma_f16 v128, v133, 0xbacd, -v159
	v_mul_f16_e64 v133, 0xba62, v139
	v_add_f16_e64 v155, v206, v155
	s_delay_alu instid0(VALU_DEP_4) | instskip(SKIP_4) | instid1(VALU_DEP_4)
	v_add_f16_e64 v157, v160, v157
	v_fma_f16 v160, 0xb461, v144, v200
	v_add_f16_e64 v117, v128, v117
	v_fma_f16 v139, v112, 0xb8d2, -v133
	v_fmac_f16_e64 v133, 0xb8d2, v112
	v_add_f16_e64 v48, v160, v48
	v_mul_f16_e64 v160, 0x3964, v111
	s_delay_alu instid0(VALU_DEP_2) | instskip(NEXT) | instid1(VALU_DEP_2)
	v_pack_b32_f16 v32, v155, v48
	v_fma_f16 v161, 0x39e9, v136, v160
	v_fma_f16 v128, v136, 0x39e9, -v160
	v_mul_f16_e64 v136, 0x3b29, v141
	s_delay_alu instid0(VALU_DEP_3) | instskip(SKIP_1) | instid1(VALU_DEP_4)
	v_add_f16_e64 v157, v161, v157
	v_mul_f16_e64 v161, 0xba62, v113
	v_add_f16_e64 v117, v128, v117
	s_delay_alu instid0(VALU_DEP_4) | instskip(SKIP_1) | instid1(VALU_DEP_4)
	v_fma_f16 v141, v114, 0x3722, -v136
	v_fmac_f16_e64 v136, 0x3722, v114
	v_fma_f16 v162, 0xb8d2, v138, v161
	v_fma_f16 v128, v138, 0xb8d2, -v161
	s_delay_alu instid0(VALU_DEP_2) | instskip(SKIP_1) | instid1(VALU_DEP_3)
	v_add_f16_e64 v157, v162, v157
	v_mul_f16_e64 v162, 0x3b29, v115
	v_add_f16_e64 v117, v128, v117
	s_delay_alu instid0(VALU_DEP_2) | instskip(SKIP_1) | instid1(VALU_DEP_2)
	v_fma_f16 v163, 0x3722, v140, v162
	v_fma_f16 v128, v140, 0x3722, -v162
	v_add_f16_e64 v157, v163, v157
	v_fma_f16 v163, v104, 0xbbdd, -v127
	v_fmac_f16_e32 v127, 0xbbdd, v104
	v_add_f16_e32 v104, v100, v123
	v_add_f16_e32 v100, v99, v105
	v_add_f16_e64 v117, v128, v117
	v_add_f16_e64 v163, v99, v163
	v_add_f16_e32 v127, v99, v127
	v_fma_f16 v99, v103, 0x2de8, -v147
	v_add_f16_e32 v104, v125, v104
	s_delay_alu instid0(VALU_DEP_4) | instskip(NEXT) | instid1(VALU_DEP_4)
	v_add_f16_e64 v163, v164, v163
	v_add_f16_e64 v127, v132, v127
	s_delay_alu instid0(VALU_DEP_4) | instskip(NEXT) | instid1(VALU_DEP_4)
	v_add_f16_e32 v99, v99, v100
	v_add_f16_e32 v103, v121, v104
	v_mul_f16_e64 v164, 0xbbb2, v119
	v_add_f16_e64 v156, v156, v163
	v_add_f16_e64 v127, v135, v127
	v_add_f16_e32 v38, v38, v99
	v_add_f16_e64 v39, v129, v103
	v_mul_f16_e64 v132, 0xbbb2, v143
	v_add_f16_e64 v156, v158, v156
	v_add_f16_e64 v127, v137, v127
	v_add_f16_e32 v31, v31, v38
	v_add_f16_e32 v34, v118, v39
	v_fma_f16 v165, 0xb461, v142, v164
	v_add_f16_e64 v139, v139, v156
	v_add_f16_e64 v127, v133, v127
	v_add_f16_e32 v27, v27, v31
	v_fma_f16 v31, v114, 0xb8d2, -v36
	v_mul_f16_e64 v156, 0x3bf7, v126
	v_add_f16_e64 v139, v141, v139
	v_fma_f16 v138, v116, 0xb461, -v132
	v_fma_f16 v128, v142, 0xb461, -v164
	v_mul_f16_e64 v135, 0x3bf7, v145
	v_add_f16_e64 v127, v136, v127
	v_fmac_f16_e64 v132, 0xb461, v116
	v_add_f16_e64 v34, v131, v34
	v_add_f16_e32 v27, v28, v27
	v_fma_f16 v28, v116, 0x3722, -v153
	v_add_f16_e32 v22, v31, v22
	v_add_f16_e64 v157, v165, v157
	v_fma_f16 v158, 0x2de8, v144, v156
	v_add_f16_e64 v138, v138, v139
	v_fma_f16 v139, v122, 0x2de8, -v135
	v_add_f16_e64 v117, v128, v117
	v_fma_f16 v128, v144, 0x2de8, -v156
	v_add_f16_e64 v127, v132, v127
	v_fmac_f16_e64 v135, 0x2de8, v122
	v_add_f16_e64 v33, v130, v34
	v_add_f16_e32 v27, v28, v27
	v_fma_f16 v28, v122, 0x3b76, -v154
	v_add_f16_e32 v22, v29, v22
	v_fma_f16 v29, v122, 0xbbdd, -v40
	v_add_f16_e64 v157, v158, v157
	v_add_f16_e64 v138, v139, v138
	;; [unrolled: 1-line block ×5, first 2 shown]
	v_add_f16_e32 v27, v28, v27
	v_add_f16_e32 v22, v29, v22
	v_pack_b32_f16 v28, v138, v157
	v_pack_b32_f16 v29, v30, v117
	;; [unrolled: 1-line block ×6, first 2 shown]
	v_perm_b32 v31, v102, v101, 0x5040100
	v_pack_b32_f16 v21, v22, v21
	ds_store_2addr_b32 v46, v29, v28 offset0:8 offset1:9
	ds_store_2addr_b32 v46, v32, v30 offset0:10 offset1:11
	ds_store_2addr_b32 v46, v34, v33 offset0:12 offset1:13
	ds_store_2addr_b32 v46, v31, v27 offset0:14 offset1:15
	ds_store_b32 v46, v21 offset:64
.LBB0_17:
	s_wait_alu 0xfffe
	s_or_b32 exec_lo, exec_lo, s1
	v_add_nc_u32_e32 v98, 0x600, v45
	v_add_nc_u32_e32 v31, 0x800, v45
	global_wb scope:SCOPE_SE
	s_wait_dscnt 0x0
	s_barrier_signal -1
	s_barrier_wait -1
	global_inv scope:SCOPE_SE
	ds_load_2addr_b32 v[21:22], v45 offset1:85
	ds_load_2addr_b32 v[27:28], v45 offset0:170 offset1:255
	ds_load_2addr_b32 v[29:30], v98 offset0:126 offset1:211
	;; [unrolled: 1-line block ×3, first 2 shown]
	v_add_nc_u32_e32 v33, 0xc00, v45
	v_add_nc_u32_e32 v35, 0x400, v45
	;; [unrolled: 1-line block ×3, first 2 shown]
	ds_load_2addr_b32 v[33:34], v33 offset0:82 offset1:167
	ds_load_2addr_b32 v[35:36], v35 offset0:84 offset1:169
	;; [unrolled: 1-line block ×3, first 2 shown]
	global_wb scope:SCOPE_SE
	s_wait_dscnt 0x0
	s_barrier_signal -1
	s_barrier_wait -1
	global_inv scope:SCOPE_SE
	v_lshrrev_b32_e32 v39, 16, v21
	v_lshrrev_b32_e32 v48, 16, v30
	;; [unrolled: 1-line block ×4, first 2 shown]
	v_mul_f16_e32 v110, v76, v30
	v_lshrrev_b32_e32 v40, 16, v22
	v_mul_f16_e32 v76, v76, v48
	v_mul_f16_e32 v111, v77, v100
	v_lshrrev_b32_e32 v104, 16, v33
	v_lshrrev_b32_e32 v106, 16, v34
	;; [unrolled: 1-line block ×3, first 2 shown]
	v_fmac_f16_e32 v76, v57, v30
	v_mul_f16_e32 v30, v75, v103
	v_mul_f16_e32 v77, v77, v31
	v_fmac_f16_e32 v111, v56, v31
	v_mul_f16_e32 v31, v75, v32
	v_lshrrev_b32_e32 v112, 16, v38
	v_fma_f16 v48, v57, v48, -v110
	v_mul_f16_e32 v57, v74, v104
	v_mul_f16_e32 v74, v74, v33
	v_fmac_f16_e32 v30, v55, v32
	v_mul_f16_e32 v32, v73, v106
	v_fma_f16 v31, v55, v103, -v31
	v_mul_f16_e32 v55, v72, v108
	v_mul_f16_e32 v72, v72, v37
	v_fmac_f16_e32 v57, v54, v33
	v_fma_f16 v33, v54, v104, -v74
	v_mul_f16_e32 v54, v73, v34
	v_fmac_f16_e32 v32, v53, v34
	v_mul_f16_e32 v34, v70, v112
	v_fma_f16 v56, v56, v100, -v77
	v_fmac_f16_e32 v55, v52, v37
	v_fma_f16 v37, v52, v108, -v72
	v_mul_f16_e32 v52, v70, v38
	v_lshrrev_b32_e32 v46, 16, v27
	v_fma_f16 v53, v53, v106, -v54
	v_fmac_f16_e32 v34, v51, v38
	v_sub_f16_e32 v38, v21, v76
	v_sub_f16_e32 v54, v39, v48
	;; [unrolled: 1-line block ×4, first 2 shown]
	v_lshrrev_b32_e32 v47, 16, v28
	v_fma_f16 v51, v51, v112, -v52
	v_sub_f16_e32 v52, v40, v56
	v_lshrrev_b32_e32 v105, 16, v35
	v_lshrrev_b32_e32 v107, 16, v36
	;; [unrolled: 1-line block ×3, first 2 shown]
	v_sub_f16_e32 v31, v46, v31
	v_fma_f16 v56, v21, 2.0, -v38
	v_fma_f16 v39, v39, 2.0, -v54
	;; [unrolled: 1-line block ×3, first 2 shown]
	v_sub_f16_e32 v30, v27, v30
	v_fma_f16 v76, v28, 2.0, -v57
	v_sub_f16_e32 v22, v36, v55
	v_sub_f16_e32 v28, v29, v34
	v_fma_f16 v73, v40, 2.0, -v52
	v_sub_f16_e32 v33, v47, v33
	v_sub_f16_e32 v32, v35, v32
	;; [unrolled: 1-line block ×4, first 2 shown]
	v_fma_f16 v75, v46, 2.0, -v31
	v_sub_f16_e32 v46, v109, v51
	v_fma_f16 v74, v27, 2.0, -v30
	v_fma_f16 v21, v36, 2.0, -v22
	;; [unrolled: 1-line block ×3, first 2 shown]
	v_pack_b32_f16 v29, v56, v39
	v_pack_b32_f16 v36, v38, v54
	v_fma_f16 v77, v47, 2.0, -v33
	v_pack_b32_f16 v37, v72, v73
	v_pack_b32_f16 v38, v70, v52
	v_fma_f16 v35, v35, 2.0, -v32
	v_fma_f16 v34, v105, 2.0, -v53
	v_fma_f16 v40, v107, 2.0, -v48
	v_fma_f16 v47, v109, 2.0, -v46
	ds_store_2addr_b32 v63, v29, v36 offset1:17
	ds_store_2addr_b32 v64, v37, v38 offset1:17
	v_pack_b32_f16 v29, v74, v75
	v_pack_b32_f16 v30, v30, v31
	;; [unrolled: 1-line block ×10, first 2 shown]
	ds_store_2addr_b32 v58, v29, v30 offset1:17
	ds_store_2addr_b32 v59, v31, v33 offset1:17
	;; [unrolled: 1-line block ×5, first 2 shown]
	v_add_nc_u32_e32 v31, 0x200, v45
	v_add_nc_u32_e32 v39, 0xa00, v45
	global_wb scope:SCOPE_SE
	s_wait_dscnt 0x0
	s_barrier_signal -1
	s_barrier_wait -1
	global_inv scope:SCOPE_SE
	ds_load_2addr_b32 v[29:30], v45 offset1:85
	ds_load_2addr_b32 v[37:38], v31 offset0:110 offset1:195
	ds_load_2addr_b32 v[35:36], v98 offset0:92 offset1:177
	;; [unrolled: 1-line block ×4, first 2 shown]
	s_and_saveexec_b32 s1, s0
	s_cbranch_execz .LBB0_19
; %bb.18:
	v_add_nc_u32_e32 v21, 0x280, v45
	ds_load_2addr_b32 v[27:28], v39 offset0:6 offset1:244
	ds_load_2addr_b32 v[21:22], v21 offset0:10 offset1:248
	ds_load_b32 v101, v45 offset:4488
	s_wait_dscnt 0x2
	v_lshrrev_b32_e32 v47, 16, v27
	v_lshrrev_b32_e32 v46, 16, v28
	s_wait_dscnt 0x1
	v_lshrrev_b32_e32 v40, 16, v21
	v_lshrrev_b32_e32 v48, 16, v22
	s_wait_dscnt 0x0
	v_lshrrev_b32_e32 v102, 16, v101
.LBB0_19:
	s_wait_alu 0xfffe
	s_or_b32 exec_lo, exec_lo, s1
	s_wait_dscnt 0x3
	v_lshrrev_b32_e32 v52, 16, v37
	s_wait_dscnt 0x2
	v_lshrrev_b32_e32 v53, 16, v35
	s_wait_dscnt 0x1
	v_lshrrev_b32_e32 v54, 16, v33
	s_wait_dscnt 0x0
	v_lshrrev_b32_e32 v55, 16, v31
	v_mul_f16_e32 v59, v85, v37
	v_mul_f16_e32 v58, v85, v52
	v_lshrrev_b32_e32 v57, 16, v38
	v_lshrrev_b32_e32 v60, 16, v36
	v_mul_f16_e32 v64, v82, v55
	v_lshrrev_b32_e32 v61, 16, v34
	v_fmac_f16_e32 v58, v8, v37
	v_fma_f16 v8, v8, v52, -v59
	v_mul_f16_e32 v37, v84, v53
	v_mul_f16_e32 v59, v83, v54
	;; [unrolled: 1-line block ×3, first 2 shown]
	v_fmac_f16_e32 v64, v11, v31
	v_mul_f16_e32 v31, v82, v31
	v_fmac_f16_e32 v37, v9, v35
	v_fmac_f16_e32 v59, v10, v33
	v_lshrrev_b32_e32 v62, 16, v32
	v_mul_f16_e32 v63, v83, v33
	v_fma_f16 v9, v9, v53, -v52
	v_mul_f16_e32 v33, v81, v57
	v_mul_f16_e32 v35, v81, v38
	;; [unrolled: 1-line block ×4, first 2 shown]
	v_fma_f16 v11, v11, v55, -v31
	v_add_f16_e32 v31, v37, v59
	v_fma_f16 v10, v10, v54, -v63
	v_fmac_f16_e32 v33, v4, v38
	v_fma_f16 v4, v4, v57, -v35
	v_fmac_f16_e32 v52, v5, v36
	v_fma_f16 v5, v5, v60, -v53
	v_mul_f16_e32 v35, v79, v61
	v_mul_f16_e32 v36, v79, v34
	;; [unrolled: 1-line block ×3, first 2 shown]
	v_add_f16_e32 v53, v29, v58
	v_fma_f16 v31, -0.5, v31, v29
	v_sub_f16_e32 v54, v8, v11
	v_lshrrev_b32_e32 v51, 16, v29
	v_fmac_f16_e32 v35, v6, v34
	v_fma_f16 v6, v6, v61, -v36
	v_fmac_f16_e32 v38, v7, v32
	v_add_f16_e32 v34, v53, v37
	v_fmamk_f16 v36, v54, 0xbb9c, v31
	v_sub_f16_e32 v53, v9, v10
	v_sub_f16_e32 v55, v58, v37
	;; [unrolled: 1-line block ×3, first 2 shown]
	v_add_f16_e32 v60, v58, v64
	v_mul_f16_e32 v32, v78, v32
	v_fmac_f16_e32 v31, 0x3b9c, v54
	v_add_f16_e32 v34, v34, v59
	v_fmac_f16_e32 v36, 0xb8b4, v53
	v_add_f16_e32 v55, v55, v57
	v_fma_f16 v29, -0.5, v60, v29
	v_fma_f16 v7, v7, v62, -v32
	v_sub_f16_e32 v57, v37, v58
	v_sub_f16_e32 v60, v59, v64
	v_fmac_f16_e32 v31, 0x38b4, v53
	v_add_f16_e32 v61, v51, v8
	v_add_f16_e32 v62, v9, v10
	;; [unrolled: 1-line block ×3, first 2 shown]
	v_fmac_f16_e32 v36, 0x34f2, v55
	v_fmamk_f16 v34, v53, 0x3b9c, v29
	v_add_f16_e32 v57, v57, v60
	v_fmac_f16_e32 v29, 0xbb9c, v53
	v_add_f16_e32 v53, v61, v9
	v_fma_f16 v60, -0.5, v62, v51
	v_sub_f16_e32 v58, v58, v64
	v_fmac_f16_e32 v31, 0x34f2, v55
	v_add_f16_e32 v55, v8, v11
	v_fmac_f16_e32 v34, 0xb8b4, v54
	v_fmac_f16_e32 v29, 0x38b4, v54
	v_add_f16_e32 v53, v53, v10
	v_fmamk_f16 v54, v58, 0x3b9c, v60
	v_sub_f16_e32 v37, v37, v59
	v_sub_f16_e32 v59, v8, v9
	;; [unrolled: 1-line block ×3, first 2 shown]
	v_fmac_f16_e32 v51, -0.5, v55
	v_fmac_f16_e32 v60, 0xbb9c, v58
	v_sub_f16_e32 v8, v9, v8
	v_sub_f16_e32 v9, v10, v11
	v_add_f16_e32 v10, v52, v35
	v_fmac_f16_e32 v34, 0x34f2, v57
	v_fmac_f16_e32 v29, 0x34f2, v57
	v_add_f16_e32 v53, v53, v11
	v_fmac_f16_e32 v54, 0x38b4, v37
	v_add_f16_e32 v55, v59, v61
	v_fmamk_f16 v57, v37, 0xbb9c, v51
	v_fmac_f16_e32 v60, 0xb8b4, v37
	v_add_f16_e32 v8, v8, v9
	v_fmac_f16_e32 v51, 0x3b9c, v37
	v_add_f16_e32 v9, v30, v33
	v_fma_f16 v10, -0.5, v10, v30
	v_sub_f16_e32 v11, v4, v7
	v_fmac_f16_e32 v54, 0x34f2, v55
	v_fmac_f16_e32 v57, 0x38b4, v58
	;; [unrolled: 1-line block ×4, first 2 shown]
	v_add_f16_e32 v9, v9, v52
	v_fmamk_f16 v37, v11, 0xbb9c, v10
	v_sub_f16_e32 v55, v5, v6
	v_sub_f16_e32 v58, v33, v52
	;; [unrolled: 1-line block ×3, first 2 shown]
	v_fmac_f16_e32 v10, 0x3b9c, v11
	v_add_f16_e32 v61, v33, v38
	v_lshrrev_b32_e32 v56, 16, v30
	v_add_f16_e32 v9, v9, v35
	v_fmac_f16_e32 v37, 0xb8b4, v55
	v_add_f16_e32 v58, v58, v59
	v_fmac_f16_e32 v10, 0x38b4, v55
	v_fmac_f16_e32 v30, -0.5, v61
	v_sub_f16_e32 v59, v52, v33
	v_sub_f16_e32 v61, v35, v38
	v_fmac_f16_e32 v57, 0x34f2, v8
	v_fmac_f16_e32 v51, 0x34f2, v8
	v_add_f16_e32 v8, v9, v38
	v_fmac_f16_e32 v37, 0x34f2, v58
	v_fmac_f16_e32 v10, 0x34f2, v58
	v_fmamk_f16 v9, v55, 0x3b9c, v30
	v_add_f16_e32 v58, v5, v6
	v_fmac_f16_e32 v30, 0xbb9c, v55
	v_sub_f16_e32 v33, v33, v38
	v_add_f16_e32 v38, v59, v61
	v_add_f16_e32 v59, v4, v7
	;; [unrolled: 1-line block ×3, first 2 shown]
	v_fma_f16 v58, -0.5, v58, v56
	v_fmac_f16_e32 v9, 0xb8b4, v11
	v_fmac_f16_e32 v30, 0x38b4, v11
	v_sub_f16_e32 v35, v52, v35
	v_fmac_f16_e32 v56, -0.5, v59
	v_add_f16_e32 v11, v55, v5
	v_fmamk_f16 v55, v33, 0x3b9c, v58
	v_fmac_f16_e32 v9, 0x34f2, v38
	v_fmac_f16_e32 v30, 0x34f2, v38
	v_sub_f16_e32 v38, v4, v5
	v_sub_f16_e32 v52, v7, v6
	v_fmac_f16_e32 v58, 0xbb9c, v33
	v_fmamk_f16 v59, v35, 0xbb9c, v56
	v_sub_f16_e32 v4, v5, v4
	v_sub_f16_e32 v5, v6, v7
	v_fmac_f16_e32 v56, 0x3b9c, v35
	v_add_f16_e32 v11, v11, v6
	v_fmac_f16_e32 v55, 0x38b4, v35
	v_add_f16_e32 v6, v38, v52
	v_fmac_f16_e32 v58, 0xb8b4, v35
	v_fmac_f16_e32 v59, 0x38b4, v33
	v_add_f16_e32 v4, v4, v5
	v_fmac_f16_e32 v56, 0xb8b4, v33
	v_fmac_f16_e32 v55, 0x34f2, v6
	;; [unrolled: 1-line block ×3, first 2 shown]
	v_pack_b32_f16 v6, v36, v54
	v_fmac_f16_e32 v59, 0x34f2, v4
	v_fmac_f16_e32 v56, 0x34f2, v4
	v_pack_b32_f16 v4, v32, v53
	v_add_f16_e32 v5, v11, v7
	v_add_nc_u32_e32 v39, 0x154, v44
	global_wb scope:SCOPE_SE
	s_barrier_signal -1
	s_barrier_wait -1
	global_inv scope:SCOPE_SE
	ds_store_2addr_b32 v71, v4, v6 offset1:34
	v_pack_b32_f16 v4, v34, v57
	v_pack_b32_f16 v6, v29, v51
	;; [unrolled: 1-line block ×8, first 2 shown]
	ds_store_2addr_b32 v71, v4, v6 offset0:68 offset1:102
	ds_store_b32 v71, v7 offset:544
	ds_store_2addr_b32 v69, v5, v8 offset1:34
	ds_store_2addr_b32 v69, v9, v11 offset0:68 offset1:102
	ds_store_b32 v69, v10 offset:544
	s_and_saveexec_b32 s1, s0
	s_cbranch_execz .LBB0_21
; %bb.20:
	v_mul_f16_e32 v4, v65, v22
	v_mul_f16_e32 v6, v66, v101
	;; [unrolled: 1-line block ×7, first 2 shown]
	v_fma_f16 v4, v0, v48, -v4
	v_mul_f16_e32 v9, v67, v46
	v_fma_f16 v6, v3, v102, -v6
	v_fmac_f16_e32 v10, v0, v22
	v_fmac_f16_e32 v11, v3, v101
	;; [unrolled: 1-line block ×4, first 2 shown]
	v_add_f16_e32 v27, v6, v4
	v_fma_f16 v0, v1, v47, -v5
	v_fma_f16 v1, v2, v46, -v7
	v_add_f16_e32 v5, v11, v10
	v_sub_f16_e32 v2, v8, v9
	v_fma_f16 v3, -0.5, v27, v40
	v_sub_f16_e32 v7, v0, v4
	v_sub_f16_e32 v28, v0, v1
	v_fma_f16 v5, -0.5, v5, v21
	v_sub_f16_e32 v22, v1, v6
	v_fmamk_f16 v27, v2, 0x3b9c, v3
	v_sub_f16_e32 v29, v10, v11
	v_sub_f16_e32 v30, v8, v10
	;; [unrolled: 1-line block ×4, first 2 shown]
	v_fmamk_f16 v33, v28, 0xbb9c, v5
	v_fmac_f16_e32 v3, 0xbb9c, v2
	v_fmac_f16_e32 v5, 0x3b9c, v28
	v_add_f16_e32 v7, v22, v7
	v_fmac_f16_e32 v27, 0xb8b4, v29
	v_add_f16_e32 v22, v31, v30
	;; [unrolled: 2-line block ×3, first 2 shown]
	v_fmac_f16_e32 v3, 0x38b4, v29
	v_fmac_f16_e32 v5, 0xb8b4, v32
	v_sub_f16_e32 v31, v4, v0
	v_sub_f16_e32 v34, v6, v1
	v_add_f16_e32 v35, v9, v8
	v_fmac_f16_e32 v27, 0x34f2, v7
	v_fmac_f16_e32 v33, 0x34f2, v22
	v_fma_f16 v30, -0.5, v30, v40
	v_fmac_f16_e32 v3, 0x34f2, v7
	v_fmac_f16_e32 v5, 0x34f2, v22
	v_add_f16_e32 v7, v34, v31
	v_fma_f16 v22, -0.5, v35, v21
	v_sub_f16_e32 v31, v10, v8
	v_add_f16_e32 v4, v4, v40
	v_add_f16_e32 v10, v21, v10
	v_fmamk_f16 v36, v29, 0x3b9c, v30
	v_sub_f16_e32 v34, v11, v9
	v_fmamk_f16 v35, v32, 0xbb9c, v22
	v_add_f16_e32 v0, v0, v4
	v_and_b32_e32 v21, 0xffff, v50
	v_add_f16_e32 v8, v8, v10
	v_fmac_f16_e32 v30, 0xbb9c, v29
	v_fmac_f16_e32 v22, 0x3b9c, v32
	v_fmac_f16_e32 v36, 0x38b4, v2
	v_add_f16_e32 v4, v34, v31
	v_fmac_f16_e32 v35, 0xb8b4, v28
	v_add_f16_e32 v0, v1, v0
	v_mul_u32_u24_e32 v1, 0xaa, v21
	v_add_f16_e32 v8, v9, v8
	v_fmac_f16_e32 v30, 0xb8b4, v2
	v_fmac_f16_e32 v22, 0x38b4, v28
	;; [unrolled: 1-line block ×3, first 2 shown]
	v_add_f16_e32 v0, v6, v0
	v_add_nc_u32_e32 v1, v1, v49
	v_add_f16_e32 v2, v11, v8
	v_fmac_f16_e32 v35, 0x34f2, v4
	v_fmac_f16_e32 v30, 0x34f2, v7
	;; [unrolled: 1-line block ×3, first 2 shown]
	v_lshl_add_u32 v1, v1, 2, v43
	v_pack_b32_f16 v0, v2, v0
	v_pack_b32_f16 v2, v35, v36
	;; [unrolled: 1-line block ×5, first 2 shown]
	ds_store_2addr_b32 v1, v0, v2 offset1:34
	ds_store_2addr_b32 v1, v3, v4 offset0:68 offset1:102
	ds_store_b32 v1, v5 offset:544
.LBB0_21:
	s_wait_alu 0xfffe
	s_or_b32 exec_lo, exec_lo, s1
	v_add_nc_u32_e32 v4, 0x400, v45
	global_wb scope:SCOPE_SE
	s_wait_dscnt 0x0
	s_barrier_signal -1
	s_barrier_wait -1
	global_inv scope:SCOPE_SE
	ds_load_2addr_b32 v[0:1], v45 offset1:85
	ds_load_2addr_b32 v[2:3], v45 offset0:170 offset1:255
	v_add_nc_u32_e32 v6, 0x600, v45
	v_add_nc_u32_e32 v8, 0x800, v45
	;; [unrolled: 1-line block ×4, first 2 shown]
	ds_load_2addr_b32 v[4:5], v4 offset0:84 offset1:169
	ds_load_2addr_b32 v[6:7], v6 offset0:126 offset1:211
	;; [unrolled: 1-line block ×5, first 2 shown]
	s_wait_dscnt 0x6
	v_lshrrev_b32_e32 v27, 16, v0
	s_wait_dscnt 0x5
	v_lshrrev_b32_e32 v28, 16, v2
	;; [unrolled: 2-line block ×6, first 2 shown]
	v_mul_f16_e32 v43, v97, v28
	v_mul_f16_e32 v45, v97, v2
	;; [unrolled: 1-line block ×4, first 2 shown]
	v_lshrrev_b32_e32 v30, 16, v3
	s_wait_dscnt 0x0
	v_lshrrev_b32_e32 v35, 16, v21
	v_fmac_f16_e32 v43, v16, v2
	v_fma_f16 v2, v16, v28, -v45
	v_fmac_f16_e32 v46, v17, v4
	v_fma_f16 v4, v17, v31, -v47
	v_mul_f16_e32 v16, v95, v32
	v_mul_f16_e32 v17, v95, v6
	;; [unrolled: 1-line block ×5, first 2 shown]
	v_lshrrev_b32_e32 v36, 16, v5
	v_lshrrev_b32_e32 v37, 16, v7
	;; [unrolled: 1-line block ×3, first 2 shown]
	v_fmac_f16_e32 v16, v18, v6
	v_fma_f16 v6, v18, v32, -v17
	v_fmac_f16_e32 v28, v19, v8
	v_fma_f16 v8, v19, v33, -v31
	v_fmac_f16_e32 v45, v23, v10
	v_mul_f16_e32 v10, v93, v10
	v_mul_f16_e32 v17, v92, v35
	;; [unrolled: 1-line block ×5, first 2 shown]
	v_lshrrev_b32_e32 v40, 16, v11
	v_lshrrev_b32_e32 v48, 16, v22
	v_fma_f16 v10, v23, v34, -v10
	v_fmac_f16_e32 v17, v24, v21
	v_fma_f16 v18, v24, v35, -v18
	v_fmac_f16_e32 v19, v12, v3
	v_fma_f16 v3, v12, v30, -v31
	v_mul_f16_e32 v12, v90, v36
	v_mul_f16_e32 v21, v90, v5
	;; [unrolled: 1-line block ×5, first 2 shown]
	v_fmac_f16_e32 v12, v13, v5
	v_fma_f16 v5, v13, v36, -v21
	v_fmac_f16_e32 v23, v14, v7
	v_fma_f16 v7, v14, v37, -v24
	v_fmac_f16_e32 v30, v15, v9
	v_mul_f16_e32 v9, v88, v9
	v_mul_f16_e32 v13, v87, v40
	;; [unrolled: 1-line block ×5, first 2 shown]
	v_fma_f16 v9, v15, v38, -v9
	v_fmac_f16_e32 v13, v25, v11
	v_fma_f16 v11, v25, v40, -v14
	v_fmac_f16_e32 v21, v26, v22
	v_fma_f16 v14, v26, v48, -v24
	v_add_f16_e32 v15, v43, v17
	v_add_f16_e32 v22, v2, v18
	v_sub_f16_e32 v2, v2, v18
	v_add_f16_e32 v18, v46, v45
	v_add_f16_e32 v24, v4, v10
	v_sub_f16_e32 v17, v43, v17
	v_sub_f16_e32 v25, v46, v45
	;; [unrolled: 1-line block ×3, first 2 shown]
	v_add_f16_e32 v10, v16, v28
	v_add_f16_e32 v26, v6, v8
	v_sub_f16_e32 v16, v28, v16
	v_sub_f16_e32 v6, v8, v6
	v_add_f16_e32 v8, v18, v15
	v_add_f16_e32 v28, v24, v22
	v_sub_f16_e32 v31, v18, v15
	v_sub_f16_e32 v32, v24, v22
	;; [unrolled: 1-line block ×6, first 2 shown]
	v_add_f16_e32 v33, v16, v25
	v_add_f16_e32 v34, v6, v4
	v_sub_f16_e32 v35, v16, v25
	v_sub_f16_e32 v36, v6, v4
	;; [unrolled: 1-line block ×3, first 2 shown]
	v_add_f16_e32 v8, v10, v8
	v_add_f16_e32 v10, v26, v28
	v_sub_f16_e32 v4, v4, v2
	v_sub_f16_e32 v16, v17, v16
	;; [unrolled: 1-line block ×3, first 2 shown]
	v_add_f16_e32 v17, v33, v17
	v_add_f16_e32 v2, v34, v2
	;; [unrolled: 1-line block ×4, first 2 shown]
	v_mul_f16_e32 v15, 0x3a52, v15
	v_mul_f16_e32 v22, 0x3a52, v22
	;; [unrolled: 1-line block ×8, first 2 shown]
	v_fmamk_f16 v8, v8, 0xbcab, v0
	v_fmamk_f16 v10, v10, 0xbcab, v26
	;; [unrolled: 1-line block ×4, first 2 shown]
	v_fma_f16 v27, v31, 0x39e0, -v27
	v_fma_f16 v28, v32, 0x39e0, -v28
	v_fma_f16 v15, v31, 0xb9e0, -v15
	v_fma_f16 v22, v32, 0xb9e0, -v22
	v_fmamk_f16 v31, v16, 0xb574, v33
	v_fmamk_f16 v32, v6, 0xb574, v34
	v_fma_f16 v16, v16, 0x3574, -v35
	v_fma_f16 v6, v6, 0x3574, -v36
	;; [unrolled: 1-line block ×4, first 2 shown]
	v_add_f16_e32 v18, v18, v8
	v_add_f16_e32 v24, v24, v10
	v_add_f16_e32 v27, v27, v8
	v_add_f16_e32 v28, v28, v10
	v_add_f16_e32 v8, v15, v8
	v_add_f16_e32 v10, v22, v10
	v_fmac_f16_e32 v31, 0xb70e, v17
	v_fmac_f16_e32 v32, 0xb70e, v2
	;; [unrolled: 1-line block ×6, first 2 shown]
	v_add_f16_e32 v2, v32, v18
	v_sub_f16_e32 v15, v24, v31
	v_add_f16_e32 v17, v6, v8
	v_sub_f16_e32 v22, v10, v16
	v_sub_f16_e32 v6, v8, v6
	v_add_f16_e32 v8, v16, v10
	v_sub_f16_e32 v10, v18, v32
	v_add_f16_e32 v16, v31, v24
	v_add_f16_e32 v18, v19, v21
	;; [unrolled: 1-line block ×3, first 2 shown]
	v_sub_f16_e32 v19, v19, v21
	v_sub_f16_e32 v3, v3, v14
	v_add_f16_e32 v14, v12, v13
	v_add_f16_e32 v21, v5, v11
	v_sub_f16_e32 v33, v27, v4
	v_add_f16_e32 v4, v4, v27
	v_sub_f16_e32 v12, v12, v13
	v_sub_f16_e32 v5, v5, v11
	v_add_f16_e32 v11, v23, v30
	v_add_f16_e32 v13, v7, v9
	v_sub_f16_e32 v23, v30, v23
	v_sub_f16_e32 v7, v9, v7
	v_add_f16_e32 v9, v14, v18
	v_add_f16_e32 v27, v21, v24
	v_lshrrev_b32_e32 v29, 16, v1
	v_add_f16_e32 v34, v25, v28
	v_sub_f16_e32 v25, v28, v25
	v_sub_f16_e32 v28, v14, v18
	v_sub_f16_e32 v30, v21, v24
	v_sub_f16_e32 v18, v18, v11
	v_sub_f16_e32 v24, v24, v13
	v_sub_f16_e32 v14, v11, v14
	v_sub_f16_e32 v21, v13, v21
	v_add_f16_e32 v31, v23, v12
	v_add_f16_e32 v32, v7, v5
	v_sub_f16_e32 v35, v23, v12
	v_sub_f16_e32 v36, v7, v5
	;; [unrolled: 1-line block ×3, first 2 shown]
	v_add_f16_e32 v9, v11, v9
	v_add_f16_e32 v11, v13, v27
	v_sub_f16_e32 v5, v5, v3
	v_sub_f16_e32 v23, v19, v23
	;; [unrolled: 1-line block ×3, first 2 shown]
	v_add_f16_e32 v13, v31, v19
	v_add_f16_e32 v3, v32, v3
	v_add_f16_e32 v1, v1, v9
	v_add_f16_e32 v19, v29, v11
	v_mul_f16_e32 v18, 0x3a52, v18
	v_mul_f16_e32 v24, 0x3a52, v24
	;; [unrolled: 1-line block ×8, first 2 shown]
	v_fmamk_f16 v9, v9, 0xbcab, v1
	v_fmamk_f16 v11, v11, 0xbcab, v19
	;; [unrolled: 1-line block ×4, first 2 shown]
	v_fma_f16 v27, v28, 0x39e0, -v27
	v_fma_f16 v29, v30, 0x39e0, -v29
	;; [unrolled: 1-line block ×4, first 2 shown]
	v_fmamk_f16 v28, v23, 0xb574, v31
	v_fmamk_f16 v30, v7, 0xb574, v32
	v_fma_f16 v23, v23, 0x3574, -v35
	v_fma_f16 v7, v7, 0x3574, -v36
	;; [unrolled: 1-line block ×4, first 2 shown]
	v_add_f16_e32 v14, v14, v9
	v_add_f16_e32 v21, v21, v11
	;; [unrolled: 1-line block ×6, first 2 shown]
	v_fmac_f16_e32 v28, 0xb70e, v13
	v_fmac_f16_e32 v30, 0xb70e, v3
	;; [unrolled: 1-line block ×6, first 2 shown]
	v_add_f16_e32 v3, v30, v14
	v_sub_f16_e32 v13, v21, v28
	v_add_f16_e32 v18, v7, v9
	v_sub_f16_e32 v24, v11, v23
	v_sub_f16_e32 v7, v9, v7
	v_add_f16_e32 v9, v23, v11
	v_sub_f16_e32 v11, v14, v30
	v_add_f16_e32 v14, v28, v21
	v_pack_b32_f16 v21, v0, v26
	v_sub_f16_e32 v31, v27, v5
	v_add_f16_e32 v32, v12, v29
	v_add_f16_e32 v5, v5, v27
	v_sub_f16_e32 v12, v29, v12
	v_pack_b32_f16 v17, v17, v22
	v_pack_b32_f16 v22, v33, v34
	v_add_nc_u32_e32 v0, 0x400, v44
	v_pack_b32_f16 v4, v4, v25
	v_pack_b32_f16 v6, v6, v8
	v_add_nc_u32_e32 v8, 0xa00, v44
	v_pack_b32_f16 v10, v10, v16
	v_pack_b32_f16 v2, v2, v15
	;; [unrolled: 1-line block ×3, first 2 shown]
	ds_store_b32 v44, v21
	ds_store_2addr_b32 v0, v17, v22 offset0:84 offset1:254
	ds_store_2addr_b32 v8, v4, v6 offset0:40 offset1:210
	v_pack_b32_f16 v3, v3, v13
	v_pack_b32_f16 v4, v18, v24
	v_add_nc_u32_e32 v6, 0x200, v39
	v_pack_b32_f16 v8, v31, v32
	v_pack_b32_f16 v5, v5, v12
	v_add_nc_u32_e32 v12, 0x700, v39
	;; [unrolled: 3-line block ×3, first 2 shown]
	ds_store_b32 v44, v10 offset:4080
	ds_store_2addr_b32 v44, v1, v2 offset0:85 offset1:170
	ds_store_2addr_b32 v6, v3, v4 offset0:42 offset1:212
	;; [unrolled: 1-line block ×4, first 2 shown]
	global_wb scope:SCOPE_SE
	s_wait_dscnt 0x0
	s_barrier_signal -1
	s_barrier_wait -1
	global_inv scope:SCOPE_SE
	s_and_b32 exec_lo, exec_lo, vcc_lo
	s_cbranch_execz .LBB0_23
; %bb.22:
	global_load_b32 v1, v41, s[8:9]
	ds_load_b32 v2, v44
	s_mov_b32 s10, 0x1b89401c
	s_mov_b32 s11, 0x3f4b8940
	v_mad_co_u64_u32 v[7:8], null, s4, v42, 0
	s_wait_dscnt 0x0
	v_lshrrev_b32_e32 v3, 16, v2
	s_wait_loadcnt 0x0
	v_lshrrev_b32_e32 v4, 16, v1
	s_delay_alu instid0(VALU_DEP_1) | instskip(SKIP_1) | instid1(VALU_DEP_2)
	v_mul_f16_e32 v5, v3, v4
	v_mul_f16_e32 v4, v2, v4
	v_fmac_f16_e32 v5, v2, v1
	s_delay_alu instid0(VALU_DEP_2) | instskip(NEXT) | instid1(VALU_DEP_2)
	v_fma_f16 v1, v1, v3, -v4
	v_cvt_f32_f16_e32 v2, v5
	s_delay_alu instid0(VALU_DEP_2) | instskip(SKIP_1) | instid1(VALU_DEP_3)
	v_cvt_f32_f16_e32 v3, v1
	v_mad_co_u64_u32 v[5:6], null, s6, v20, 0
	v_cvt_f64_f32_e32 v[1:2], v2
	s_delay_alu instid0(VALU_DEP_3) | instskip(SKIP_1) | instid1(VALU_DEP_2)
	v_cvt_f64_f32_e32 v[3:4], v3
	s_wait_alu 0xfffe
	v_mul_f64_e32 v[1:2], s[10:11], v[1:2]
	s_delay_alu instid0(VALU_DEP_2) | instskip(NEXT) | instid1(VALU_DEP_2)
	v_mul_f64_e32 v[3:4], s[10:11], v[3:4]
	v_and_or_b32 v1, 0x1ff, v2, v1
	s_delay_alu instid0(VALU_DEP_2)
	v_and_or_b32 v3, 0x1ff, v4, v3
	v_lshrrev_b32_e32 v9, 8, v2
	v_bfe_u32 v11, v2, 20, 11
	v_lshrrev_b32_e32 v10, 8, v4
	v_cmp_ne_u32_e32 vcc_lo, 0, v1
	v_bfe_u32 v12, v4, 20, 11
	v_mov_b32_e32 v1, v8
	v_sub_nc_u32_e32 v14, 0x3f1, v11
	v_lshrrev_b32_e32 v4, 16, v4
	v_cndmask_b32_e64 v13, 0, 1, vcc_lo
	v_cmp_ne_u32_e32 vcc_lo, 0, v3
	v_sub_nc_u32_e32 v15, 0x3f1, v12
	v_med3_i32 v14, v14, 0, 13
	s_delay_alu instid0(VALU_DEP_4)
	v_and_or_b32 v13, 0xffe, v9, v13
	s_wait_alu 0xfffd
	v_cndmask_b32_e64 v3, 0, 1, vcc_lo
	v_mad_co_u64_u32 v[8:9], null, s7, v20, v[6:7]
	v_med3_i32 v15, v15, 0, 13
	v_or_b32_e32 v16, 0x1000, v13
	s_delay_alu instid0(VALU_DEP_4) | instskip(NEXT) | instid1(VALU_DEP_4)
	v_and_or_b32 v3, 0xffe, v10, v3
	v_mov_b32_e32 v6, v8
	s_delay_alu instid0(VALU_DEP_2) | instskip(SKIP_2) | instid1(VALU_DEP_4)
	v_or_b32_e32 v17, 0x1000, v3
	v_mad_co_u64_u32 v[9:10], null, s5, v42, v[1:2]
	v_lshrrev_b32_e32 v1, v14, v16
	v_lshlrev_b64_e32 v[5:6], 2, v[5:6]
	s_delay_alu instid0(VALU_DEP_4) | instskip(SKIP_1) | instid1(VALU_DEP_3)
	v_lshrrev_b32_e32 v10, v15, v17
	s_mul_u64 s[4:5], s[4:5], 0x118
	v_lshlrev_b32_e32 v14, v14, v1
	s_delay_alu instid0(VALU_DEP_2) | instskip(NEXT) | instid1(VALU_DEP_2)
	v_dual_mov_b32 v8, v9 :: v_dual_lshlrev_b32 v9, v15, v10
	v_cmp_ne_u32_e32 vcc_lo, v14, v16
	s_wait_alu 0xfffd
	v_cndmask_b32_e64 v14, 0, 1, vcc_lo
	s_delay_alu instid0(VALU_DEP_3) | instskip(NEXT) | instid1(VALU_DEP_2)
	v_cmp_ne_u32_e32 vcc_lo, v9, v17
	v_or_b32_e32 v1, v1, v14
	v_add_nc_u32_e32 v12, 0xfffffc10, v12
	s_wait_alu 0xfffd
	v_cndmask_b32_e64 v9, 0, 1, vcc_lo
	s_delay_alu instid0(VALU_DEP_2) | instskip(NEXT) | instid1(VALU_DEP_2)
	v_lshl_or_b32 v14, v12, 12, v3
	v_or_b32_e32 v9, v10, v9
	v_add_nc_u32_e32 v11, 0xfffffc10, v11
	v_lshrrev_b32_e32 v10, 16, v2
	s_delay_alu instid0(VALU_DEP_2) | instskip(SKIP_2) | instid1(VALU_DEP_2)
	v_lshl_or_b32 v15, v11, 12, v13
	v_cmp_gt_i32_e32 vcc_lo, 1, v11
	s_wait_alu 0xfffd
	v_cndmask_b32_e32 v1, v15, v1, vcc_lo
	v_cmp_gt_i32_e32 vcc_lo, 1, v12
	s_wait_alu 0xfffd
	v_cndmask_b32_e32 v2, v14, v9, vcc_lo
	v_cmp_ne_u32_e32 vcc_lo, 0, v13
	v_and_b32_e32 v13, 7, v1
	v_lshrrev_b32_e32 v1, 2, v1
	s_wait_alu 0xfffd
	v_cndmask_b32_e64 v9, 0, 1, vcc_lo
	v_cmp_ne_u32_e32 vcc_lo, 0, v3
	v_cmp_eq_u32_e64 s0, 3, v13
	s_delay_alu instid0(VALU_DEP_3) | instskip(SKIP_3) | instid1(VALU_DEP_2)
	v_lshl_or_b32 v9, v9, 9, 0x7c00
	s_wait_alu 0xfffd
	v_cndmask_b32_e64 v3, 0, 1, vcc_lo
	v_cmp_lt_i32_e32 vcc_lo, 5, v13
	v_lshl_or_b32 v3, v3, 9, 0x7c00
	s_or_b32 vcc_lo, s0, vcc_lo
	s_wait_alu 0xfffe
	v_add_co_ci_u32_e32 v1, vcc_lo, 0, v1, vcc_lo
	v_and_b32_e32 v14, 7, v2
	v_lshrrev_b32_e32 v2, 2, v2
	s_delay_alu instid0(VALU_DEP_2) | instskip(SKIP_1) | instid1(VALU_DEP_1)
	v_cmp_lt_i32_e64 s1, 5, v14
	v_cmp_eq_u32_e64 s2, 3, v14
	s_or_b32 vcc_lo, s2, s1
	s_wait_alu 0xfffe
	v_add_co_ci_u32_e32 v2, vcc_lo, 0, v2, vcc_lo
	v_cmp_gt_i32_e32 vcc_lo, 31, v11
	s_wait_alu 0xfffd
	v_cndmask_b32_e32 v1, 0x7c00, v1, vcc_lo
	v_cmp_gt_i32_e32 vcc_lo, 31, v12
	s_wait_alu 0xfffd
	v_cndmask_b32_e32 v13, 0x7c00, v2, vcc_lo
	v_cmp_eq_u32_e32 vcc_lo, 0x40f, v11
	s_wait_alu 0xfffd
	v_cndmask_b32_e32 v9, v1, v9, vcc_lo
	v_cmp_eq_u32_e32 vcc_lo, 0x40f, v12
	v_lshlrev_b64_e32 v[1:2], 2, v[7:8]
	s_delay_alu instid0(VALU_DEP_3)
	v_and_or_b32 v7, 0x8000, v10, v9
	s_wait_alu 0xfffd
	v_cndmask_b32_e32 v3, v13, v3, vcc_lo
	v_add_co_u32 v5, vcc_lo, s12, v5
	s_wait_alu 0xfffd
	v_add_co_ci_u32_e32 v6, vcc_lo, s13, v6, vcc_lo
	s_delay_alu instid0(VALU_DEP_3) | instskip(SKIP_4) | instid1(VALU_DEP_3)
	v_and_or_b32 v3, 0x8000, v4, v3
	v_and_b32_e32 v4, 0xffff, v7
	v_add_co_u32 v1, vcc_lo, v5, v1
	s_wait_alu 0xfffd
	v_add_co_ci_u32_e32 v2, vcc_lo, v6, v2, vcc_lo
	v_lshl_or_b32 v3, v3, 16, v4
	global_store_b32 v[1:2], v3, off
	global_load_b32 v5, v41, s[8:9] offset:280
	ds_load_2addr_b32 v[3:4], v44 offset0:70 offset1:140
	s_wait_dscnt 0x0
	v_lshrrev_b32_e32 v6, 16, v3
	s_wait_loadcnt 0x0
	v_lshrrev_b32_e32 v7, 16, v5
	s_delay_alu instid0(VALU_DEP_1) | instskip(SKIP_1) | instid1(VALU_DEP_2)
	v_mul_f16_e32 v8, v6, v7
	v_mul_f16_e32 v7, v3, v7
	v_fmac_f16_e32 v8, v3, v5
	s_delay_alu instid0(VALU_DEP_2) | instskip(NEXT) | instid1(VALU_DEP_2)
	v_fma_f16 v3, v5, v6, -v7
	v_cvt_f32_f16_e32 v5, v8
	s_delay_alu instid0(VALU_DEP_2) | instskip(NEXT) | instid1(VALU_DEP_2)
	v_cvt_f32_f16_e32 v3, v3
	v_cvt_f64_f32_e32 v[5:6], v5
	s_delay_alu instid0(VALU_DEP_2) | instskip(NEXT) | instid1(VALU_DEP_2)
	v_cvt_f64_f32_e32 v[7:8], v3
	v_mul_f64_e32 v[5:6], s[10:11], v[5:6]
	s_delay_alu instid0(VALU_DEP_2) | instskip(NEXT) | instid1(VALU_DEP_2)
	v_mul_f64_e32 v[7:8], s[10:11], v[7:8]
	v_and_or_b32 v3, 0x1ff, v6, v5
	s_delay_alu instid0(VALU_DEP_2)
	v_and_or_b32 v7, 0x1ff, v8, v7
	v_lshrrev_b32_e32 v5, 8, v6
	v_bfe_u32 v9, v6, 20, 11
	v_lshrrev_b32_e32 v10, 8, v8
	v_cmp_ne_u32_e32 vcc_lo, 0, v3
	v_bfe_u32 v11, v8, 20, 11
	v_lshrrev_b32_e32 v6, 16, v6
	v_sub_nc_u32_e32 v12, 0x3f1, v9
	v_add_nc_u32_e32 v9, 0xfffffc10, v9
	s_wait_alu 0xfffd
	v_cndmask_b32_e64 v3, 0, 1, vcc_lo
	v_cmp_ne_u32_e32 vcc_lo, 0, v7
	v_lshrrev_b32_e32 v8, 16, v8
	s_delay_alu instid0(VALU_DEP_3) | instskip(SKIP_4) | instid1(VALU_DEP_3)
	v_and_or_b32 v3, 0xffe, v5, v3
	s_wait_alu 0xfffd
	v_cndmask_b32_e64 v7, 0, 1, vcc_lo
	v_sub_nc_u32_e32 v5, 0x3f1, v11
	v_add_nc_u32_e32 v11, 0xfffffc10, v11
	v_and_or_b32 v7, 0xffe, v10, v7
	v_med3_i32 v10, v12, 0, 13
	v_or_b32_e32 v12, 0x1000, v3
	v_med3_i32 v5, v5, 0, 13
	s_delay_alu instid0(VALU_DEP_4) | instskip(NEXT) | instid1(VALU_DEP_3)
	v_or_b32_e32 v13, 0x1000, v7
	v_lshrrev_b32_e32 v14, v10, v12
	s_delay_alu instid0(VALU_DEP_2) | instskip(NEXT) | instid1(VALU_DEP_2)
	v_lshrrev_b32_e32 v15, v5, v13
	v_lshlrev_b32_e32 v10, v10, v14
	s_delay_alu instid0(VALU_DEP_2) | instskip(NEXT) | instid1(VALU_DEP_2)
	v_lshlrev_b32_e32 v5, v5, v15
	v_cmp_ne_u32_e32 vcc_lo, v10, v12
	v_lshl_or_b32 v12, v9, 12, v3
	s_wait_alu 0xfffd
	v_cndmask_b32_e64 v10, 0, 1, vcc_lo
	v_cmp_ne_u32_e32 vcc_lo, v5, v13
	v_lshl_or_b32 v13, v11, 12, v7
	s_delay_alu instid0(VALU_DEP_3) | instskip(SKIP_3) | instid1(VALU_DEP_2)
	v_or_b32_e32 v10, v14, v10
	s_wait_alu 0xfffd
	v_cndmask_b32_e64 v5, 0, 1, vcc_lo
	v_cmp_gt_i32_e32 vcc_lo, 1, v9
	v_or_b32_e32 v5, v15, v5
	s_wait_alu 0xfffd
	v_cndmask_b32_e32 v10, v12, v10, vcc_lo
	v_cmp_gt_i32_e32 vcc_lo, 1, v11
	s_wait_alu 0xfffd
	s_delay_alu instid0(VALU_DEP_2) | instskip(SKIP_2) | instid1(VALU_DEP_3)
	v_dual_cndmask_b32 v5, v13, v5 :: v_dual_and_b32 v12, 7, v10
	v_cmp_ne_u32_e32 vcc_lo, 0, v3
	v_lshrrev_b32_e32 v10, 2, v10
	v_cmp_eq_u32_e64 s0, 3, v12
	s_delay_alu instid0(VALU_DEP_4)
	v_and_b32_e32 v13, 7, v5
	s_wait_alu 0xfffd
	v_cndmask_b32_e64 v3, 0, 1, vcc_lo
	v_cmp_ne_u32_e32 vcc_lo, 0, v7
	v_lshrrev_b32_e32 v5, 2, v5
	v_cmp_lt_i32_e64 s1, 5, v13
	v_cmp_eq_u32_e64 s2, 3, v13
	s_wait_alu 0xfffd
	v_cndmask_b32_e64 v7, 0, 1, vcc_lo
	v_cmp_lt_i32_e32 vcc_lo, 5, v12
	v_lshl_or_b32 v3, v3, 9, 0x7c00
	s_delay_alu instid0(VALU_DEP_3)
	v_lshl_or_b32 v7, v7, 9, 0x7c00
	s_or_b32 vcc_lo, s0, vcc_lo
	s_wait_alu 0xfffe
	v_add_co_ci_u32_e32 v10, vcc_lo, 0, v10, vcc_lo
	s_or_b32 vcc_lo, s2, s1
	s_wait_alu 0xfffe
	v_add_co_ci_u32_e32 v5, vcc_lo, 0, v5, vcc_lo
	v_cmp_gt_i32_e32 vcc_lo, 31, v9
	s_wait_alu 0xfffd
	v_cndmask_b32_e32 v10, 0x7c00, v10, vcc_lo
	v_cmp_gt_i32_e32 vcc_lo, 31, v11
	s_wait_alu 0xfffd
	v_cndmask_b32_e32 v5, 0x7c00, v5, vcc_lo
	v_cmp_eq_u32_e32 vcc_lo, 0x40f, v9
	s_wait_alu 0xfffd
	v_cndmask_b32_e32 v3, v10, v3, vcc_lo
	v_cmp_eq_u32_e32 vcc_lo, 0x40f, v11
	s_delay_alu instid0(VALU_DEP_2)
	v_and_or_b32 v3, 0x8000, v6, v3
	s_wait_alu 0xfffd
	v_cndmask_b32_e32 v5, v5, v7, vcc_lo
	v_add_co_u32 v1, vcc_lo, v1, s4
	s_wait_alu 0xfffd
	v_add_co_ci_u32_e32 v2, vcc_lo, s5, v2, vcc_lo
	s_delay_alu instid0(VALU_DEP_3) | instskip(SKIP_1) | instid1(VALU_DEP_1)
	v_and_or_b32 v5, 0x8000, v8, v5
	v_and_b32_e32 v3, 0xffff, v3
	v_lshl_or_b32 v3, v5, 16, v3
	v_lshrrev_b32_e32 v5, 16, v4
	global_store_b32 v[1:2], v3, off
	global_load_b32 v3, v41, s[8:9] offset:560
	s_wait_loadcnt 0x0
	v_lshrrev_b32_e32 v6, 16, v3
	s_delay_alu instid0(VALU_DEP_1) | instskip(SKIP_1) | instid1(VALU_DEP_2)
	v_mul_f16_e32 v7, v5, v6
	v_mul_f16_e32 v6, v4, v6
	v_fmac_f16_e32 v7, v4, v3
	s_delay_alu instid0(VALU_DEP_2) | instskip(NEXT) | instid1(VALU_DEP_2)
	v_fma_f16 v3, v3, v5, -v6
	v_cvt_f32_f16_e32 v4, v7
	s_delay_alu instid0(VALU_DEP_2) | instskip(NEXT) | instid1(VALU_DEP_2)
	v_cvt_f32_f16_e32 v5, v3
	v_cvt_f64_f32_e32 v[3:4], v4
	s_delay_alu instid0(VALU_DEP_2) | instskip(NEXT) | instid1(VALU_DEP_2)
	v_cvt_f64_f32_e32 v[5:6], v5
	v_mul_f64_e32 v[3:4], s[10:11], v[3:4]
	s_delay_alu instid0(VALU_DEP_2) | instskip(NEXT) | instid1(VALU_DEP_2)
	v_mul_f64_e32 v[5:6], s[10:11], v[5:6]
	v_and_or_b32 v3, 0x1ff, v4, v3
	s_delay_alu instid0(VALU_DEP_2)
	v_and_or_b32 v5, 0x1ff, v6, v5
	v_lshrrev_b32_e32 v7, 8, v4
	v_bfe_u32 v8, v4, 20, 11
	v_lshrrev_b32_e32 v9, 8, v6
	v_cmp_ne_u32_e32 vcc_lo, 0, v3
	v_bfe_u32 v10, v6, 20, 11
	v_lshrrev_b32_e32 v4, 16, v4
	v_sub_nc_u32_e32 v11, 0x3f1, v8
	v_add_nc_u32_e32 v8, 0xfffffc10, v8
	s_wait_alu 0xfffd
	v_cndmask_b32_e64 v3, 0, 1, vcc_lo
	v_cmp_ne_u32_e32 vcc_lo, 0, v5
	v_lshrrev_b32_e32 v6, 16, v6
	s_delay_alu instid0(VALU_DEP_3) | instskip(SKIP_4) | instid1(VALU_DEP_3)
	v_and_or_b32 v3, 0xffe, v7, v3
	s_wait_alu 0xfffd
	v_cndmask_b32_e64 v5, 0, 1, vcc_lo
	v_sub_nc_u32_e32 v7, 0x3f1, v10
	v_add_nc_u32_e32 v10, 0xfffffc10, v10
	v_and_or_b32 v5, 0xffe, v9, v5
	v_med3_i32 v9, v11, 0, 13
	v_or_b32_e32 v11, 0x1000, v3
	v_med3_i32 v7, v7, 0, 13
	s_delay_alu instid0(VALU_DEP_4) | instskip(NEXT) | instid1(VALU_DEP_3)
	v_or_b32_e32 v12, 0x1000, v5
	v_lshrrev_b32_e32 v13, v9, v11
	s_delay_alu instid0(VALU_DEP_2) | instskip(NEXT) | instid1(VALU_DEP_2)
	v_lshrrev_b32_e32 v14, v7, v12
	v_lshlrev_b32_e32 v9, v9, v13
	s_delay_alu instid0(VALU_DEP_2) | instskip(NEXT) | instid1(VALU_DEP_2)
	v_lshlrev_b32_e32 v7, v7, v14
	v_cmp_ne_u32_e32 vcc_lo, v9, v11
	v_lshl_or_b32 v11, v8, 12, v3
	s_wait_alu 0xfffd
	v_cndmask_b32_e64 v9, 0, 1, vcc_lo
	v_cmp_ne_u32_e32 vcc_lo, v7, v12
	v_lshl_or_b32 v12, v10, 12, v5
	s_delay_alu instid0(VALU_DEP_3) | instskip(SKIP_3) | instid1(VALU_DEP_2)
	v_or_b32_e32 v9, v13, v9
	s_wait_alu 0xfffd
	v_cndmask_b32_e64 v7, 0, 1, vcc_lo
	v_cmp_gt_i32_e32 vcc_lo, 1, v8
	v_or_b32_e32 v7, v14, v7
	s_wait_alu 0xfffd
	v_cndmask_b32_e32 v9, v11, v9, vcc_lo
	v_cmp_gt_i32_e32 vcc_lo, 1, v10
	s_delay_alu instid0(VALU_DEP_2)
	v_and_b32_e32 v11, 7, v9
	s_wait_alu 0xfffd
	v_cndmask_b32_e32 v7, v12, v7, vcc_lo
	v_cmp_ne_u32_e32 vcc_lo, 0, v3
	v_lshrrev_b32_e32 v9, 2, v9
	v_cmp_eq_u32_e64 s0, 3, v11
	s_delay_alu instid0(VALU_DEP_4)
	v_and_b32_e32 v12, 7, v7
	s_wait_alu 0xfffd
	v_cndmask_b32_e64 v3, 0, 1, vcc_lo
	v_cmp_ne_u32_e32 vcc_lo, 0, v5
	v_lshrrev_b32_e32 v7, 2, v7
	v_cmp_lt_i32_e64 s1, 5, v12
	v_cmp_eq_u32_e64 s2, 3, v12
	s_wait_alu 0xfffd
	v_cndmask_b32_e64 v5, 0, 1, vcc_lo
	v_cmp_lt_i32_e32 vcc_lo, 5, v11
	v_lshl_or_b32 v3, v3, 9, 0x7c00
	s_delay_alu instid0(VALU_DEP_3)
	v_lshl_or_b32 v5, v5, 9, 0x7c00
	s_or_b32 vcc_lo, s0, vcc_lo
	s_wait_alu 0xfffe
	v_add_co_ci_u32_e32 v9, vcc_lo, 0, v9, vcc_lo
	s_or_b32 vcc_lo, s2, s1
	s_wait_alu 0xfffe
	v_add_co_ci_u32_e32 v7, vcc_lo, 0, v7, vcc_lo
	v_cmp_gt_i32_e32 vcc_lo, 31, v8
	s_wait_alu 0xfffd
	v_cndmask_b32_e32 v9, 0x7c00, v9, vcc_lo
	v_cmp_gt_i32_e32 vcc_lo, 31, v10
	s_wait_alu 0xfffd
	v_cndmask_b32_e32 v7, 0x7c00, v7, vcc_lo
	v_cmp_eq_u32_e32 vcc_lo, 0x40f, v8
	s_wait_alu 0xfffd
	v_cndmask_b32_e32 v3, v9, v3, vcc_lo
	v_cmp_eq_u32_e32 vcc_lo, 0x40f, v10
	s_delay_alu instid0(VALU_DEP_2)
	v_and_or_b32 v3, 0x8000, v4, v3
	s_wait_alu 0xfffd
	v_cndmask_b32_e32 v5, v7, v5, vcc_lo
	v_add_co_u32 v1, vcc_lo, v1, s4
	s_wait_alu 0xfffd
	v_add_co_ci_u32_e32 v2, vcc_lo, s5, v2, vcc_lo
	s_delay_alu instid0(VALU_DEP_3) | instskip(SKIP_1) | instid1(VALU_DEP_1)
	v_and_or_b32 v4, 0x8000, v6, v5
	v_and_b32_e32 v3, 0xffff, v3
	v_lshl_or_b32 v3, v4, 16, v3
	global_store_b32 v[1:2], v3, off
	global_load_b32 v5, v41, s[8:9] offset:840
	v_add_nc_u32_e32 v3, 0x200, v44
	ds_load_2addr_b32 v[3:4], v3 offset0:82 offset1:152
	s_wait_dscnt 0x0
	v_lshrrev_b32_e32 v6, 16, v3
	s_wait_loadcnt 0x0
	v_lshrrev_b32_e32 v7, 16, v5
	s_delay_alu instid0(VALU_DEP_1) | instskip(SKIP_1) | instid1(VALU_DEP_2)
	v_mul_f16_e32 v8, v6, v7
	v_mul_f16_e32 v7, v3, v7
	v_fmac_f16_e32 v8, v3, v5
	s_delay_alu instid0(VALU_DEP_2) | instskip(NEXT) | instid1(VALU_DEP_2)
	v_fma_f16 v3, v5, v6, -v7
	v_cvt_f32_f16_e32 v5, v8
	s_delay_alu instid0(VALU_DEP_2) | instskip(NEXT) | instid1(VALU_DEP_2)
	v_cvt_f32_f16_e32 v3, v3
	v_cvt_f64_f32_e32 v[5:6], v5
	s_delay_alu instid0(VALU_DEP_2) | instskip(NEXT) | instid1(VALU_DEP_2)
	v_cvt_f64_f32_e32 v[7:8], v3
	v_mul_f64_e32 v[5:6], s[10:11], v[5:6]
	s_delay_alu instid0(VALU_DEP_2) | instskip(NEXT) | instid1(VALU_DEP_2)
	v_mul_f64_e32 v[7:8], s[10:11], v[7:8]
	v_and_or_b32 v3, 0x1ff, v6, v5
	s_delay_alu instid0(VALU_DEP_2)
	v_and_or_b32 v7, 0x1ff, v8, v7
	v_lshrrev_b32_e32 v5, 8, v6
	v_bfe_u32 v9, v6, 20, 11
	v_lshrrev_b32_e32 v10, 8, v8
	v_cmp_ne_u32_e32 vcc_lo, 0, v3
	v_bfe_u32 v11, v8, 20, 11
	v_lshrrev_b32_e32 v6, 16, v6
	v_sub_nc_u32_e32 v12, 0x3f1, v9
	v_add_nc_u32_e32 v9, 0xfffffc10, v9
	s_wait_alu 0xfffd
	v_cndmask_b32_e64 v3, 0, 1, vcc_lo
	v_cmp_ne_u32_e32 vcc_lo, 0, v7
	v_lshrrev_b32_e32 v8, 16, v8
	s_delay_alu instid0(VALU_DEP_3) | instskip(SKIP_4) | instid1(VALU_DEP_3)
	v_and_or_b32 v3, 0xffe, v5, v3
	s_wait_alu 0xfffd
	v_cndmask_b32_e64 v7, 0, 1, vcc_lo
	v_sub_nc_u32_e32 v5, 0x3f1, v11
	v_add_nc_u32_e32 v11, 0xfffffc10, v11
	v_and_or_b32 v7, 0xffe, v10, v7
	v_med3_i32 v10, v12, 0, 13
	v_or_b32_e32 v12, 0x1000, v3
	v_med3_i32 v5, v5, 0, 13
	s_delay_alu instid0(VALU_DEP_4) | instskip(NEXT) | instid1(VALU_DEP_3)
	v_or_b32_e32 v13, 0x1000, v7
	v_lshrrev_b32_e32 v14, v10, v12
	s_delay_alu instid0(VALU_DEP_2) | instskip(NEXT) | instid1(VALU_DEP_2)
	v_lshrrev_b32_e32 v15, v5, v13
	v_lshlrev_b32_e32 v10, v10, v14
	s_delay_alu instid0(VALU_DEP_2) | instskip(NEXT) | instid1(VALU_DEP_2)
	v_lshlrev_b32_e32 v5, v5, v15
	v_cmp_ne_u32_e32 vcc_lo, v10, v12
	v_lshl_or_b32 v12, v9, 12, v3
	s_wait_alu 0xfffd
	v_cndmask_b32_e64 v10, 0, 1, vcc_lo
	v_cmp_ne_u32_e32 vcc_lo, v5, v13
	v_lshl_or_b32 v13, v11, 12, v7
	s_delay_alu instid0(VALU_DEP_3) | instskip(SKIP_3) | instid1(VALU_DEP_2)
	v_or_b32_e32 v10, v14, v10
	s_wait_alu 0xfffd
	v_cndmask_b32_e64 v5, 0, 1, vcc_lo
	v_cmp_gt_i32_e32 vcc_lo, 1, v9
	v_or_b32_e32 v5, v15, v5
	s_wait_alu 0xfffd
	v_cndmask_b32_e32 v10, v12, v10, vcc_lo
	v_cmp_gt_i32_e32 vcc_lo, 1, v11
	s_wait_alu 0xfffd
	s_delay_alu instid0(VALU_DEP_2) | instskip(SKIP_2) | instid1(VALU_DEP_3)
	v_dual_cndmask_b32 v5, v13, v5 :: v_dual_and_b32 v12, 7, v10
	v_cmp_ne_u32_e32 vcc_lo, 0, v3
	v_lshrrev_b32_e32 v10, 2, v10
	v_cmp_eq_u32_e64 s0, 3, v12
	s_delay_alu instid0(VALU_DEP_4)
	v_and_b32_e32 v13, 7, v5
	s_wait_alu 0xfffd
	v_cndmask_b32_e64 v3, 0, 1, vcc_lo
	v_cmp_ne_u32_e32 vcc_lo, 0, v7
	v_lshrrev_b32_e32 v5, 2, v5
	v_cmp_lt_i32_e64 s1, 5, v13
	v_cmp_eq_u32_e64 s2, 3, v13
	s_wait_alu 0xfffd
	v_cndmask_b32_e64 v7, 0, 1, vcc_lo
	v_cmp_lt_i32_e32 vcc_lo, 5, v12
	v_lshl_or_b32 v3, v3, 9, 0x7c00
	s_delay_alu instid0(VALU_DEP_3)
	v_lshl_or_b32 v7, v7, 9, 0x7c00
	s_or_b32 vcc_lo, s0, vcc_lo
	s_wait_alu 0xfffe
	v_add_co_ci_u32_e32 v10, vcc_lo, 0, v10, vcc_lo
	s_or_b32 vcc_lo, s2, s1
	s_wait_alu 0xfffe
	v_add_co_ci_u32_e32 v5, vcc_lo, 0, v5, vcc_lo
	v_cmp_gt_i32_e32 vcc_lo, 31, v9
	s_wait_alu 0xfffd
	v_cndmask_b32_e32 v10, 0x7c00, v10, vcc_lo
	v_cmp_gt_i32_e32 vcc_lo, 31, v11
	s_wait_alu 0xfffd
	v_cndmask_b32_e32 v5, 0x7c00, v5, vcc_lo
	v_cmp_eq_u32_e32 vcc_lo, 0x40f, v9
	s_wait_alu 0xfffd
	v_cndmask_b32_e32 v3, v10, v3, vcc_lo
	v_cmp_eq_u32_e32 vcc_lo, 0x40f, v11
	s_delay_alu instid0(VALU_DEP_2)
	v_and_or_b32 v3, 0x8000, v6, v3
	s_wait_alu 0xfffd
	v_cndmask_b32_e32 v5, v5, v7, vcc_lo
	v_add_co_u32 v1, vcc_lo, v1, s4
	s_wait_alu 0xfffd
	v_add_co_ci_u32_e32 v2, vcc_lo, s5, v2, vcc_lo
	s_delay_alu instid0(VALU_DEP_3) | instskip(SKIP_1) | instid1(VALU_DEP_1)
	v_and_or_b32 v5, 0x8000, v8, v5
	v_and_b32_e32 v3, 0xffff, v3
	v_lshl_or_b32 v3, v5, 16, v3
	v_lshrrev_b32_e32 v5, 16, v4
	global_store_b32 v[1:2], v3, off
	global_load_b32 v3, v41, s[8:9] offset:1120
	s_wait_loadcnt 0x0
	v_lshrrev_b32_e32 v6, 16, v3
	s_delay_alu instid0(VALU_DEP_1) | instskip(SKIP_1) | instid1(VALU_DEP_2)
	v_mul_f16_e32 v7, v5, v6
	v_mul_f16_e32 v6, v4, v6
	v_fmac_f16_e32 v7, v4, v3
	s_delay_alu instid0(VALU_DEP_2) | instskip(NEXT) | instid1(VALU_DEP_2)
	v_fma_f16 v3, v3, v5, -v6
	v_cvt_f32_f16_e32 v4, v7
	s_delay_alu instid0(VALU_DEP_2) | instskip(NEXT) | instid1(VALU_DEP_2)
	v_cvt_f32_f16_e32 v5, v3
	v_cvt_f64_f32_e32 v[3:4], v4
	s_delay_alu instid0(VALU_DEP_2) | instskip(NEXT) | instid1(VALU_DEP_2)
	v_cvt_f64_f32_e32 v[5:6], v5
	v_mul_f64_e32 v[3:4], s[10:11], v[3:4]
	s_delay_alu instid0(VALU_DEP_2) | instskip(NEXT) | instid1(VALU_DEP_2)
	v_mul_f64_e32 v[5:6], s[10:11], v[5:6]
	v_and_or_b32 v3, 0x1ff, v4, v3
	s_delay_alu instid0(VALU_DEP_2)
	v_and_or_b32 v5, 0x1ff, v6, v5
	v_lshrrev_b32_e32 v7, 8, v4
	v_bfe_u32 v8, v4, 20, 11
	v_lshrrev_b32_e32 v9, 8, v6
	v_cmp_ne_u32_e32 vcc_lo, 0, v3
	v_bfe_u32 v10, v6, 20, 11
	v_lshrrev_b32_e32 v4, 16, v4
	v_sub_nc_u32_e32 v11, 0x3f1, v8
	v_add_nc_u32_e32 v8, 0xfffffc10, v8
	s_wait_alu 0xfffd
	v_cndmask_b32_e64 v3, 0, 1, vcc_lo
	v_cmp_ne_u32_e32 vcc_lo, 0, v5
	v_lshrrev_b32_e32 v6, 16, v6
	s_delay_alu instid0(VALU_DEP_3) | instskip(SKIP_4) | instid1(VALU_DEP_3)
	v_and_or_b32 v3, 0xffe, v7, v3
	s_wait_alu 0xfffd
	v_cndmask_b32_e64 v5, 0, 1, vcc_lo
	v_sub_nc_u32_e32 v7, 0x3f1, v10
	v_add_nc_u32_e32 v10, 0xfffffc10, v10
	v_and_or_b32 v5, 0xffe, v9, v5
	v_med3_i32 v9, v11, 0, 13
	v_or_b32_e32 v11, 0x1000, v3
	v_med3_i32 v7, v7, 0, 13
	s_delay_alu instid0(VALU_DEP_4) | instskip(NEXT) | instid1(VALU_DEP_3)
	v_or_b32_e32 v12, 0x1000, v5
	v_lshrrev_b32_e32 v13, v9, v11
	s_delay_alu instid0(VALU_DEP_2) | instskip(NEXT) | instid1(VALU_DEP_2)
	v_lshrrev_b32_e32 v14, v7, v12
	v_lshlrev_b32_e32 v9, v9, v13
	s_delay_alu instid0(VALU_DEP_2) | instskip(NEXT) | instid1(VALU_DEP_2)
	v_lshlrev_b32_e32 v7, v7, v14
	v_cmp_ne_u32_e32 vcc_lo, v9, v11
	v_lshl_or_b32 v11, v8, 12, v3
	s_wait_alu 0xfffd
	v_cndmask_b32_e64 v9, 0, 1, vcc_lo
	v_cmp_ne_u32_e32 vcc_lo, v7, v12
	v_lshl_or_b32 v12, v10, 12, v5
	s_delay_alu instid0(VALU_DEP_3) | instskip(SKIP_3) | instid1(VALU_DEP_2)
	v_or_b32_e32 v9, v13, v9
	s_wait_alu 0xfffd
	v_cndmask_b32_e64 v7, 0, 1, vcc_lo
	v_cmp_gt_i32_e32 vcc_lo, 1, v8
	v_or_b32_e32 v7, v14, v7
	s_wait_alu 0xfffd
	v_cndmask_b32_e32 v9, v11, v9, vcc_lo
	v_cmp_gt_i32_e32 vcc_lo, 1, v10
	s_delay_alu instid0(VALU_DEP_2)
	v_and_b32_e32 v11, 7, v9
	s_wait_alu 0xfffd
	v_cndmask_b32_e32 v7, v12, v7, vcc_lo
	v_cmp_ne_u32_e32 vcc_lo, 0, v3
	v_lshrrev_b32_e32 v9, 2, v9
	v_cmp_eq_u32_e64 s0, 3, v11
	s_delay_alu instid0(VALU_DEP_4)
	v_and_b32_e32 v12, 7, v7
	s_wait_alu 0xfffd
	v_cndmask_b32_e64 v3, 0, 1, vcc_lo
	v_cmp_ne_u32_e32 vcc_lo, 0, v5
	v_lshrrev_b32_e32 v7, 2, v7
	v_cmp_lt_i32_e64 s1, 5, v12
	v_cmp_eq_u32_e64 s2, 3, v12
	s_wait_alu 0xfffd
	v_cndmask_b32_e64 v5, 0, 1, vcc_lo
	v_cmp_lt_i32_e32 vcc_lo, 5, v11
	v_lshl_or_b32 v3, v3, 9, 0x7c00
	s_delay_alu instid0(VALU_DEP_3)
	v_lshl_or_b32 v5, v5, 9, 0x7c00
	s_or_b32 vcc_lo, s0, vcc_lo
	s_wait_alu 0xfffe
	v_add_co_ci_u32_e32 v9, vcc_lo, 0, v9, vcc_lo
	s_or_b32 vcc_lo, s2, s1
	s_wait_alu 0xfffe
	v_add_co_ci_u32_e32 v7, vcc_lo, 0, v7, vcc_lo
	v_cmp_gt_i32_e32 vcc_lo, 31, v8
	s_wait_alu 0xfffd
	v_cndmask_b32_e32 v9, 0x7c00, v9, vcc_lo
	v_cmp_gt_i32_e32 vcc_lo, 31, v10
	s_wait_alu 0xfffd
	v_cndmask_b32_e32 v7, 0x7c00, v7, vcc_lo
	v_cmp_eq_u32_e32 vcc_lo, 0x40f, v8
	s_wait_alu 0xfffd
	v_cndmask_b32_e32 v3, v9, v3, vcc_lo
	v_cmp_eq_u32_e32 vcc_lo, 0x40f, v10
	s_delay_alu instid0(VALU_DEP_2)
	v_and_or_b32 v3, 0x8000, v4, v3
	s_wait_alu 0xfffd
	v_cndmask_b32_e32 v5, v7, v5, vcc_lo
	v_add_co_u32 v1, vcc_lo, v1, s4
	s_wait_alu 0xfffd
	v_add_co_ci_u32_e32 v2, vcc_lo, s5, v2, vcc_lo
	s_delay_alu instid0(VALU_DEP_3) | instskip(SKIP_1) | instid1(VALU_DEP_1)
	v_and_or_b32 v4, 0x8000, v6, v5
	v_and_b32_e32 v3, 0xffff, v3
	v_lshl_or_b32 v3, v4, 16, v3
	global_store_b32 v[1:2], v3, off
	global_load_b32 v5, v41, s[8:9] offset:1400
	ds_load_2addr_b32 v[3:4], v0 offset0:94 offset1:164
	s_wait_dscnt 0x0
	v_lshrrev_b32_e32 v0, 16, v3
	s_wait_loadcnt 0x0
	v_lshrrev_b32_e32 v6, 16, v5
	s_delay_alu instid0(VALU_DEP_1) | instskip(SKIP_1) | instid1(VALU_DEP_2)
	v_mul_f16_e32 v7, v0, v6
	v_mul_f16_e32 v6, v3, v6
	v_fmac_f16_e32 v7, v3, v5
	s_delay_alu instid0(VALU_DEP_2) | instskip(NEXT) | instid1(VALU_DEP_2)
	v_fma_f16 v0, v5, v0, -v6
	v_cvt_f32_f16_e32 v3, v7
	s_delay_alu instid0(VALU_DEP_2) | instskip(NEXT) | instid1(VALU_DEP_2)
	v_cvt_f32_f16_e32 v0, v0
	v_cvt_f64_f32_e32 v[5:6], v3
	s_delay_alu instid0(VALU_DEP_2) | instskip(NEXT) | instid1(VALU_DEP_2)
	v_cvt_f64_f32_e32 v[7:8], v0
	v_mul_f64_e32 v[5:6], s[10:11], v[5:6]
	s_delay_alu instid0(VALU_DEP_2) | instskip(NEXT) | instid1(VALU_DEP_2)
	v_mul_f64_e32 v[7:8], s[10:11], v[7:8]
	v_and_or_b32 v0, 0x1ff, v6, v5
	s_delay_alu instid0(VALU_DEP_2)
	v_and_or_b32 v7, 0x1ff, v8, v7
	v_lshrrev_b32_e32 v3, 8, v6
	v_bfe_u32 v5, v6, 20, 11
	v_lshrrev_b32_e32 v9, 8, v8
	v_cmp_ne_u32_e32 vcc_lo, 0, v0
	v_bfe_u32 v10, v8, 20, 11
	v_lshrrev_b32_e32 v6, 16, v6
	v_sub_nc_u32_e32 v11, 0x3f1, v5
	v_add_nc_u32_e32 v5, 0xfffffc10, v5
	s_wait_alu 0xfffd
	v_cndmask_b32_e64 v0, 0, 1, vcc_lo
	v_cmp_ne_u32_e32 vcc_lo, 0, v7
	s_delay_alu instid0(VALU_DEP_2) | instskip(SKIP_4) | instid1(VALU_DEP_3)
	v_and_or_b32 v0, 0xffe, v3, v0
	s_wait_alu 0xfffd
	v_cndmask_b32_e64 v7, 0, 1, vcc_lo
	v_sub_nc_u32_e32 v3, 0x3f1, v10
	v_add_nc_u32_e32 v10, 0xfffffc10, v10
	v_and_or_b32 v7, 0xffe, v9, v7
	v_med3_i32 v9, v11, 0, 13
	v_or_b32_e32 v11, 0x1000, v0
	v_med3_i32 v3, v3, 0, 13
	s_delay_alu instid0(VALU_DEP_4) | instskip(NEXT) | instid1(VALU_DEP_3)
	v_or_b32_e32 v12, 0x1000, v7
	v_lshrrev_b32_e32 v13, v9, v11
	s_delay_alu instid0(VALU_DEP_2) | instskip(NEXT) | instid1(VALU_DEP_2)
	v_lshrrev_b32_e32 v14, v3, v12
	v_lshlrev_b32_e32 v9, v9, v13
	s_delay_alu instid0(VALU_DEP_2) | instskip(NEXT) | instid1(VALU_DEP_2)
	v_lshlrev_b32_e32 v3, v3, v14
	v_cmp_ne_u32_e32 vcc_lo, v9, v11
	v_lshl_or_b32 v11, v5, 12, v0
	s_wait_alu 0xfffd
	v_cndmask_b32_e64 v9, 0, 1, vcc_lo
	v_cmp_ne_u32_e32 vcc_lo, v3, v12
	v_lshl_or_b32 v12, v10, 12, v7
	s_delay_alu instid0(VALU_DEP_3) | instskip(SKIP_3) | instid1(VALU_DEP_2)
	v_or_b32_e32 v9, v13, v9
	s_wait_alu 0xfffd
	v_cndmask_b32_e64 v3, 0, 1, vcc_lo
	v_cmp_gt_i32_e32 vcc_lo, 1, v5
	v_or_b32_e32 v3, v14, v3
	s_wait_alu 0xfffd
	v_cndmask_b32_e32 v9, v11, v9, vcc_lo
	v_cmp_gt_i32_e32 vcc_lo, 1, v10
	s_delay_alu instid0(VALU_DEP_2)
	v_and_b32_e32 v11, 7, v9
	s_wait_alu 0xfffd
	v_cndmask_b32_e32 v3, v12, v3, vcc_lo
	v_cmp_ne_u32_e32 vcc_lo, 0, v0
	v_lshrrev_b32_e32 v9, 2, v9
	v_cmp_eq_u32_e64 s0, 3, v11
	s_delay_alu instid0(VALU_DEP_4)
	v_and_b32_e32 v12, 7, v3
	s_wait_alu 0xfffd
	v_cndmask_b32_e64 v0, 0, 1, vcc_lo
	v_cmp_ne_u32_e32 vcc_lo, 0, v7
	v_lshrrev_b32_e32 v3, 2, v3
	v_cmp_lt_i32_e64 s1, 5, v12
	v_cmp_eq_u32_e64 s2, 3, v12
	s_wait_alu 0xfffd
	v_cndmask_b32_e64 v7, 0, 1, vcc_lo
	v_cmp_lt_i32_e32 vcc_lo, 5, v11
	v_lshl_or_b32 v0, v0, 9, 0x7c00
	s_delay_alu instid0(VALU_DEP_3)
	v_lshl_or_b32 v7, v7, 9, 0x7c00
	s_or_b32 vcc_lo, s0, vcc_lo
	s_wait_alu 0xfffe
	v_add_co_ci_u32_e32 v9, vcc_lo, 0, v9, vcc_lo
	s_or_b32 vcc_lo, s2, s1
	s_wait_alu 0xfffe
	v_add_co_ci_u32_e32 v3, vcc_lo, 0, v3, vcc_lo
	v_cmp_gt_i32_e32 vcc_lo, 31, v5
	s_wait_alu 0xfffd
	v_cndmask_b32_e32 v9, 0x7c00, v9, vcc_lo
	v_cmp_gt_i32_e32 vcc_lo, 31, v10
	s_wait_alu 0xfffd
	v_cndmask_b32_e32 v3, 0x7c00, v3, vcc_lo
	v_cmp_eq_u32_e32 vcc_lo, 0x40f, v5
	v_lshrrev_b32_e32 v5, 16, v8
	s_wait_alu 0xfffd
	v_cndmask_b32_e32 v0, v9, v0, vcc_lo
	v_cmp_eq_u32_e32 vcc_lo, 0x40f, v10
	s_delay_alu instid0(VALU_DEP_2) | instskip(SKIP_2) | instid1(VALU_DEP_1)
	v_and_or_b32 v0, 0x8000, v6, v0
	s_wait_alu 0xfffd
	v_cndmask_b32_e32 v3, v3, v7, vcc_lo
	v_and_or_b32 v3, 0x8000, v5, v3
	s_delay_alu instid0(VALU_DEP_3) | instskip(SKIP_3) | instid1(VALU_DEP_3)
	v_and_b32_e32 v5, 0xffff, v0
	v_add_co_u32 v0, vcc_lo, v1, s4
	s_wait_alu 0xfffd
	v_add_co_ci_u32_e32 v1, vcc_lo, s5, v2, vcc_lo
	v_lshl_or_b32 v2, v3, 16, v5
	v_lshrrev_b32_e32 v3, 16, v4
	global_store_b32 v[0:1], v2, off
	global_load_b32 v2, v41, s[8:9] offset:1680
	s_wait_loadcnt 0x0
	v_lshrrev_b32_e32 v5, 16, v2
	s_delay_alu instid0(VALU_DEP_1) | instskip(SKIP_1) | instid1(VALU_DEP_2)
	v_mul_f16_e32 v6, v3, v5
	v_mul_f16_e32 v5, v4, v5
	v_fmac_f16_e32 v6, v4, v2
	s_delay_alu instid0(VALU_DEP_2) | instskip(NEXT) | instid1(VALU_DEP_2)
	v_fma_f16 v2, v2, v3, -v5
	v_cvt_f32_f16_e32 v3, v6
	s_delay_alu instid0(VALU_DEP_2) | instskip(NEXT) | instid1(VALU_DEP_2)
	v_cvt_f32_f16_e32 v4, v2
	v_cvt_f64_f32_e32 v[2:3], v3
	s_delay_alu instid0(VALU_DEP_2) | instskip(NEXT) | instid1(VALU_DEP_2)
	v_cvt_f64_f32_e32 v[4:5], v4
	v_mul_f64_e32 v[2:3], s[10:11], v[2:3]
	s_delay_alu instid0(VALU_DEP_2) | instskip(NEXT) | instid1(VALU_DEP_2)
	v_mul_f64_e32 v[4:5], s[10:11], v[4:5]
	v_and_or_b32 v2, 0x1ff, v3, v2
	s_delay_alu instid0(VALU_DEP_2)
	v_and_or_b32 v4, 0x1ff, v5, v4
	v_lshrrev_b32_e32 v6, 8, v3
	v_bfe_u32 v7, v3, 20, 11
	v_lshrrev_b32_e32 v8, 8, v5
	v_cmp_ne_u32_e32 vcc_lo, 0, v2
	v_bfe_u32 v9, v5, 20, 11
	v_lshrrev_b32_e32 v3, 16, v3
	v_sub_nc_u32_e32 v10, 0x3f1, v7
	v_add_nc_u32_e32 v7, 0xfffffc10, v7
	s_wait_alu 0xfffd
	v_cndmask_b32_e64 v2, 0, 1, vcc_lo
	v_cmp_ne_u32_e32 vcc_lo, 0, v4
	v_lshrrev_b32_e32 v5, 16, v5
	s_delay_alu instid0(VALU_DEP_3) | instskip(SKIP_4) | instid1(VALU_DEP_3)
	v_and_or_b32 v2, 0xffe, v6, v2
	s_wait_alu 0xfffd
	v_cndmask_b32_e64 v4, 0, 1, vcc_lo
	v_sub_nc_u32_e32 v6, 0x3f1, v9
	v_add_nc_u32_e32 v9, 0xfffffc10, v9
	v_and_or_b32 v4, 0xffe, v8, v4
	v_med3_i32 v8, v10, 0, 13
	v_or_b32_e32 v10, 0x1000, v2
	v_med3_i32 v6, v6, 0, 13
	s_delay_alu instid0(VALU_DEP_4) | instskip(NEXT) | instid1(VALU_DEP_3)
	v_or_b32_e32 v11, 0x1000, v4
	v_lshrrev_b32_e32 v12, v8, v10
	s_delay_alu instid0(VALU_DEP_2) | instskip(NEXT) | instid1(VALU_DEP_2)
	v_lshrrev_b32_e32 v13, v6, v11
	v_lshlrev_b32_e32 v8, v8, v12
	s_delay_alu instid0(VALU_DEP_2) | instskip(NEXT) | instid1(VALU_DEP_2)
	v_lshlrev_b32_e32 v6, v6, v13
	v_cmp_ne_u32_e32 vcc_lo, v8, v10
	v_lshl_or_b32 v10, v7, 12, v2
	s_wait_alu 0xfffd
	v_cndmask_b32_e64 v8, 0, 1, vcc_lo
	v_cmp_ne_u32_e32 vcc_lo, v6, v11
	v_lshl_or_b32 v11, v9, 12, v4
	s_delay_alu instid0(VALU_DEP_3) | instskip(SKIP_3) | instid1(VALU_DEP_2)
	v_or_b32_e32 v8, v12, v8
	s_wait_alu 0xfffd
	v_cndmask_b32_e64 v6, 0, 1, vcc_lo
	v_cmp_gt_i32_e32 vcc_lo, 1, v7
	v_or_b32_e32 v6, v13, v6
	s_wait_alu 0xfffd
	v_cndmask_b32_e32 v8, v10, v8, vcc_lo
	v_cmp_gt_i32_e32 vcc_lo, 1, v9
	s_delay_alu instid0(VALU_DEP_2)
	v_and_b32_e32 v10, 7, v8
	s_wait_alu 0xfffd
	v_cndmask_b32_e32 v6, v11, v6, vcc_lo
	v_cmp_ne_u32_e32 vcc_lo, 0, v2
	v_lshrrev_b32_e32 v8, 2, v8
	v_cmp_eq_u32_e64 s0, 3, v10
	s_delay_alu instid0(VALU_DEP_4)
	v_and_b32_e32 v11, 7, v6
	s_wait_alu 0xfffd
	v_cndmask_b32_e64 v2, 0, 1, vcc_lo
	v_cmp_ne_u32_e32 vcc_lo, 0, v4
	v_lshrrev_b32_e32 v6, 2, v6
	v_cmp_lt_i32_e64 s1, 5, v11
	v_cmp_eq_u32_e64 s2, 3, v11
	s_wait_alu 0xfffd
	v_cndmask_b32_e64 v4, 0, 1, vcc_lo
	v_cmp_lt_i32_e32 vcc_lo, 5, v10
	v_lshl_or_b32 v2, v2, 9, 0x7c00
	s_delay_alu instid0(VALU_DEP_3)
	v_lshl_or_b32 v4, v4, 9, 0x7c00
	s_or_b32 vcc_lo, s0, vcc_lo
	s_wait_alu 0xfffe
	v_add_co_ci_u32_e32 v8, vcc_lo, 0, v8, vcc_lo
	s_or_b32 vcc_lo, s2, s1
	s_wait_alu 0xfffe
	v_add_co_ci_u32_e32 v6, vcc_lo, 0, v6, vcc_lo
	v_cmp_gt_i32_e32 vcc_lo, 31, v7
	s_wait_alu 0xfffd
	v_cndmask_b32_e32 v8, 0x7c00, v8, vcc_lo
	v_cmp_gt_i32_e32 vcc_lo, 31, v9
	s_wait_alu 0xfffd
	v_cndmask_b32_e32 v6, 0x7c00, v6, vcc_lo
	v_cmp_eq_u32_e32 vcc_lo, 0x40f, v7
	s_wait_alu 0xfffd
	v_cndmask_b32_e32 v2, v8, v2, vcc_lo
	v_cmp_eq_u32_e32 vcc_lo, 0x40f, v9
	s_delay_alu instid0(VALU_DEP_2)
	v_and_or_b32 v2, 0x8000, v3, v2
	s_wait_alu 0xfffd
	v_cndmask_b32_e32 v4, v6, v4, vcc_lo
	v_add_co_u32 v0, vcc_lo, v0, s4
	s_wait_alu 0xfffd
	v_add_co_ci_u32_e32 v1, vcc_lo, s5, v1, vcc_lo
	s_delay_alu instid0(VALU_DEP_3) | instskip(SKIP_1) | instid1(VALU_DEP_1)
	v_and_or_b32 v3, 0x8000, v5, v4
	v_and_b32_e32 v2, 0xffff, v2
	v_lshl_or_b32 v2, v3, 16, v2
	global_store_b32 v[0:1], v2, off
	global_load_b32 v4, v41, s[8:9] offset:1960
	v_add_nc_u32_e32 v2, 0x600, v44
	ds_load_2addr_b32 v[2:3], v2 offset0:106 offset1:176
	s_wait_dscnt 0x0
	v_lshrrev_b32_e32 v5, 16, v2
	s_wait_loadcnt 0x0
	v_lshrrev_b32_e32 v6, 16, v4
	s_delay_alu instid0(VALU_DEP_1) | instskip(SKIP_1) | instid1(VALU_DEP_2)
	v_mul_f16_e32 v7, v5, v6
	v_mul_f16_e32 v6, v2, v6
	v_fmac_f16_e32 v7, v2, v4
	s_delay_alu instid0(VALU_DEP_2) | instskip(NEXT) | instid1(VALU_DEP_2)
	v_fma_f16 v2, v4, v5, -v6
	v_cvt_f32_f16_e32 v4, v7
	s_delay_alu instid0(VALU_DEP_2) | instskip(NEXT) | instid1(VALU_DEP_2)
	v_cvt_f32_f16_e32 v2, v2
	v_cvt_f64_f32_e32 v[4:5], v4
	s_delay_alu instid0(VALU_DEP_2) | instskip(NEXT) | instid1(VALU_DEP_2)
	v_cvt_f64_f32_e32 v[6:7], v2
	v_mul_f64_e32 v[4:5], s[10:11], v[4:5]
	s_delay_alu instid0(VALU_DEP_2) | instskip(NEXT) | instid1(VALU_DEP_2)
	v_mul_f64_e32 v[6:7], s[10:11], v[6:7]
	v_and_or_b32 v2, 0x1ff, v5, v4
	s_delay_alu instid0(VALU_DEP_2)
	v_and_or_b32 v6, 0x1ff, v7, v6
	v_lshrrev_b32_e32 v4, 8, v5
	v_bfe_u32 v8, v5, 20, 11
	v_lshrrev_b32_e32 v9, 8, v7
	v_cmp_ne_u32_e32 vcc_lo, 0, v2
	v_bfe_u32 v10, v7, 20, 11
	v_lshrrev_b32_e32 v5, 16, v5
	v_sub_nc_u32_e32 v11, 0x3f1, v8
	v_add_nc_u32_e32 v8, 0xfffffc10, v8
	s_wait_alu 0xfffd
	v_cndmask_b32_e64 v2, 0, 1, vcc_lo
	v_cmp_ne_u32_e32 vcc_lo, 0, v6
	v_lshrrev_b32_e32 v7, 16, v7
	s_delay_alu instid0(VALU_DEP_3) | instskip(SKIP_4) | instid1(VALU_DEP_3)
	v_and_or_b32 v2, 0xffe, v4, v2
	s_wait_alu 0xfffd
	v_cndmask_b32_e64 v6, 0, 1, vcc_lo
	v_sub_nc_u32_e32 v4, 0x3f1, v10
	v_add_nc_u32_e32 v10, 0xfffffc10, v10
	v_and_or_b32 v6, 0xffe, v9, v6
	v_med3_i32 v9, v11, 0, 13
	v_or_b32_e32 v11, 0x1000, v2
	v_med3_i32 v4, v4, 0, 13
	s_delay_alu instid0(VALU_DEP_4) | instskip(NEXT) | instid1(VALU_DEP_3)
	v_or_b32_e32 v12, 0x1000, v6
	v_lshrrev_b32_e32 v13, v9, v11
	s_delay_alu instid0(VALU_DEP_2) | instskip(NEXT) | instid1(VALU_DEP_2)
	v_lshrrev_b32_e32 v14, v4, v12
	v_lshlrev_b32_e32 v9, v9, v13
	s_delay_alu instid0(VALU_DEP_2) | instskip(NEXT) | instid1(VALU_DEP_2)
	v_lshlrev_b32_e32 v4, v4, v14
	v_cmp_ne_u32_e32 vcc_lo, v9, v11
	v_lshl_or_b32 v11, v8, 12, v2
	s_wait_alu 0xfffd
	v_cndmask_b32_e64 v9, 0, 1, vcc_lo
	v_cmp_ne_u32_e32 vcc_lo, v4, v12
	v_lshl_or_b32 v12, v10, 12, v6
	s_delay_alu instid0(VALU_DEP_3) | instskip(SKIP_3) | instid1(VALU_DEP_2)
	v_or_b32_e32 v9, v13, v9
	s_wait_alu 0xfffd
	v_cndmask_b32_e64 v4, 0, 1, vcc_lo
	v_cmp_gt_i32_e32 vcc_lo, 1, v8
	v_or_b32_e32 v4, v14, v4
	s_wait_alu 0xfffd
	v_cndmask_b32_e32 v9, v11, v9, vcc_lo
	v_cmp_gt_i32_e32 vcc_lo, 1, v10
	s_wait_alu 0xfffd
	s_delay_alu instid0(VALU_DEP_2) | instskip(SKIP_2) | instid1(VALU_DEP_3)
	v_dual_cndmask_b32 v4, v12, v4 :: v_dual_and_b32 v11, 7, v9
	v_cmp_ne_u32_e32 vcc_lo, 0, v2
	v_lshrrev_b32_e32 v9, 2, v9
	v_cmp_eq_u32_e64 s0, 3, v11
	s_delay_alu instid0(VALU_DEP_4)
	v_and_b32_e32 v12, 7, v4
	s_wait_alu 0xfffd
	v_cndmask_b32_e64 v2, 0, 1, vcc_lo
	v_cmp_ne_u32_e32 vcc_lo, 0, v6
	v_lshrrev_b32_e32 v4, 2, v4
	v_cmp_lt_i32_e64 s1, 5, v12
	v_cmp_eq_u32_e64 s2, 3, v12
	s_wait_alu 0xfffd
	v_cndmask_b32_e64 v6, 0, 1, vcc_lo
	v_cmp_lt_i32_e32 vcc_lo, 5, v11
	v_lshl_or_b32 v2, v2, 9, 0x7c00
	s_delay_alu instid0(VALU_DEP_3)
	v_lshl_or_b32 v6, v6, 9, 0x7c00
	s_or_b32 vcc_lo, s0, vcc_lo
	s_wait_alu 0xfffe
	v_add_co_ci_u32_e32 v9, vcc_lo, 0, v9, vcc_lo
	s_or_b32 vcc_lo, s2, s1
	s_wait_alu 0xfffe
	v_add_co_ci_u32_e32 v4, vcc_lo, 0, v4, vcc_lo
	v_cmp_gt_i32_e32 vcc_lo, 31, v8
	s_wait_alu 0xfffd
	v_cndmask_b32_e32 v9, 0x7c00, v9, vcc_lo
	v_cmp_gt_i32_e32 vcc_lo, 31, v10
	s_wait_alu 0xfffd
	v_cndmask_b32_e32 v4, 0x7c00, v4, vcc_lo
	v_cmp_eq_u32_e32 vcc_lo, 0x40f, v8
	s_wait_alu 0xfffd
	v_cndmask_b32_e32 v2, v9, v2, vcc_lo
	v_cmp_eq_u32_e32 vcc_lo, 0x40f, v10
	s_delay_alu instid0(VALU_DEP_2)
	v_and_or_b32 v2, 0x8000, v5, v2
	s_wait_alu 0xfffd
	v_cndmask_b32_e32 v4, v4, v6, vcc_lo
	v_add_co_u32 v0, vcc_lo, v0, s4
	s_wait_alu 0xfffd
	v_add_co_ci_u32_e32 v1, vcc_lo, s5, v1, vcc_lo
	s_delay_alu instid0(VALU_DEP_3) | instskip(SKIP_1) | instid1(VALU_DEP_1)
	v_and_or_b32 v4, 0x8000, v7, v4
	v_and_b32_e32 v2, 0xffff, v2
	v_lshl_or_b32 v2, v4, 16, v2
	v_lshrrev_b32_e32 v4, 16, v3
	global_store_b32 v[0:1], v2, off
	global_load_b32 v2, v41, s[8:9] offset:2240
	s_wait_loadcnt 0x0
	v_lshrrev_b32_e32 v5, 16, v2
	s_delay_alu instid0(VALU_DEP_1) | instskip(SKIP_1) | instid1(VALU_DEP_2)
	v_mul_f16_e32 v6, v4, v5
	v_mul_f16_e32 v5, v3, v5
	v_fmac_f16_e32 v6, v3, v2
	s_delay_alu instid0(VALU_DEP_2) | instskip(NEXT) | instid1(VALU_DEP_2)
	v_fma_f16 v2, v2, v4, -v5
	v_cvt_f32_f16_e32 v3, v6
	s_delay_alu instid0(VALU_DEP_2) | instskip(NEXT) | instid1(VALU_DEP_2)
	v_cvt_f32_f16_e32 v4, v2
	v_cvt_f64_f32_e32 v[2:3], v3
	s_delay_alu instid0(VALU_DEP_2) | instskip(NEXT) | instid1(VALU_DEP_2)
	v_cvt_f64_f32_e32 v[4:5], v4
	v_mul_f64_e32 v[2:3], s[10:11], v[2:3]
	s_delay_alu instid0(VALU_DEP_2) | instskip(NEXT) | instid1(VALU_DEP_2)
	v_mul_f64_e32 v[4:5], s[10:11], v[4:5]
	v_and_or_b32 v2, 0x1ff, v3, v2
	s_delay_alu instid0(VALU_DEP_2)
	v_and_or_b32 v4, 0x1ff, v5, v4
	v_lshrrev_b32_e32 v6, 8, v3
	v_bfe_u32 v7, v3, 20, 11
	v_lshrrev_b32_e32 v8, 8, v5
	v_cmp_ne_u32_e32 vcc_lo, 0, v2
	v_bfe_u32 v9, v5, 20, 11
	v_lshrrev_b32_e32 v3, 16, v3
	v_sub_nc_u32_e32 v10, 0x3f1, v7
	v_add_nc_u32_e32 v7, 0xfffffc10, v7
	s_wait_alu 0xfffd
	v_cndmask_b32_e64 v2, 0, 1, vcc_lo
	v_cmp_ne_u32_e32 vcc_lo, 0, v4
	v_lshrrev_b32_e32 v5, 16, v5
	s_delay_alu instid0(VALU_DEP_3) | instskip(SKIP_4) | instid1(VALU_DEP_3)
	v_and_or_b32 v2, 0xffe, v6, v2
	s_wait_alu 0xfffd
	v_cndmask_b32_e64 v4, 0, 1, vcc_lo
	v_sub_nc_u32_e32 v6, 0x3f1, v9
	v_add_nc_u32_e32 v9, 0xfffffc10, v9
	v_and_or_b32 v4, 0xffe, v8, v4
	v_med3_i32 v8, v10, 0, 13
	v_or_b32_e32 v10, 0x1000, v2
	v_med3_i32 v6, v6, 0, 13
	s_delay_alu instid0(VALU_DEP_4) | instskip(NEXT) | instid1(VALU_DEP_3)
	v_or_b32_e32 v11, 0x1000, v4
	v_lshrrev_b32_e32 v12, v8, v10
	s_delay_alu instid0(VALU_DEP_2) | instskip(NEXT) | instid1(VALU_DEP_2)
	v_lshrrev_b32_e32 v13, v6, v11
	v_lshlrev_b32_e32 v8, v8, v12
	s_delay_alu instid0(VALU_DEP_2) | instskip(NEXT) | instid1(VALU_DEP_2)
	v_lshlrev_b32_e32 v6, v6, v13
	v_cmp_ne_u32_e32 vcc_lo, v8, v10
	v_lshl_or_b32 v10, v7, 12, v2
	s_wait_alu 0xfffd
	v_cndmask_b32_e64 v8, 0, 1, vcc_lo
	v_cmp_ne_u32_e32 vcc_lo, v6, v11
	v_lshl_or_b32 v11, v9, 12, v4
	s_delay_alu instid0(VALU_DEP_3) | instskip(SKIP_3) | instid1(VALU_DEP_2)
	v_or_b32_e32 v8, v12, v8
	s_wait_alu 0xfffd
	v_cndmask_b32_e64 v6, 0, 1, vcc_lo
	v_cmp_gt_i32_e32 vcc_lo, 1, v7
	v_or_b32_e32 v6, v13, v6
	s_wait_alu 0xfffd
	v_cndmask_b32_e32 v8, v10, v8, vcc_lo
	v_cmp_gt_i32_e32 vcc_lo, 1, v9
	s_delay_alu instid0(VALU_DEP_2)
	v_and_b32_e32 v10, 7, v8
	s_wait_alu 0xfffd
	v_cndmask_b32_e32 v6, v11, v6, vcc_lo
	v_cmp_ne_u32_e32 vcc_lo, 0, v2
	v_lshrrev_b32_e32 v8, 2, v8
	v_cmp_eq_u32_e64 s0, 3, v10
	s_delay_alu instid0(VALU_DEP_4)
	v_and_b32_e32 v11, 7, v6
	s_wait_alu 0xfffd
	v_cndmask_b32_e64 v2, 0, 1, vcc_lo
	v_cmp_ne_u32_e32 vcc_lo, 0, v4
	v_lshrrev_b32_e32 v6, 2, v6
	v_cmp_lt_i32_e64 s1, 5, v11
	v_cmp_eq_u32_e64 s2, 3, v11
	s_wait_alu 0xfffd
	v_cndmask_b32_e64 v4, 0, 1, vcc_lo
	v_cmp_lt_i32_e32 vcc_lo, 5, v10
	v_lshl_or_b32 v2, v2, 9, 0x7c00
	s_delay_alu instid0(VALU_DEP_3)
	v_lshl_or_b32 v4, v4, 9, 0x7c00
	s_or_b32 vcc_lo, s0, vcc_lo
	s_wait_alu 0xfffe
	v_add_co_ci_u32_e32 v8, vcc_lo, 0, v8, vcc_lo
	s_or_b32 vcc_lo, s2, s1
	s_wait_alu 0xfffe
	v_add_co_ci_u32_e32 v6, vcc_lo, 0, v6, vcc_lo
	v_cmp_gt_i32_e32 vcc_lo, 31, v7
	s_wait_alu 0xfffd
	v_cndmask_b32_e32 v8, 0x7c00, v8, vcc_lo
	v_cmp_gt_i32_e32 vcc_lo, 31, v9
	s_wait_alu 0xfffd
	v_cndmask_b32_e32 v6, 0x7c00, v6, vcc_lo
	v_cmp_eq_u32_e32 vcc_lo, 0x40f, v7
	s_wait_alu 0xfffd
	v_cndmask_b32_e32 v2, v8, v2, vcc_lo
	v_cmp_eq_u32_e32 vcc_lo, 0x40f, v9
	s_delay_alu instid0(VALU_DEP_2)
	v_and_or_b32 v2, 0x8000, v3, v2
	s_wait_alu 0xfffd
	v_cndmask_b32_e32 v4, v6, v4, vcc_lo
	v_add_co_u32 v0, vcc_lo, v0, s4
	s_wait_alu 0xfffd
	v_add_co_ci_u32_e32 v1, vcc_lo, s5, v1, vcc_lo
	s_delay_alu instid0(VALU_DEP_3) | instskip(SKIP_1) | instid1(VALU_DEP_1)
	v_and_or_b32 v3, 0x8000, v5, v4
	v_and_b32_e32 v2, 0xffff, v2
	v_lshl_or_b32 v2, v3, 16, v2
	global_store_b32 v[0:1], v2, off
	global_load_b32 v4, v41, s[8:9] offset:2520
	v_add_nc_u32_e32 v2, 0x800, v44
	ds_load_2addr_b32 v[2:3], v2 offset0:118 offset1:188
	s_wait_dscnt 0x0
	v_lshrrev_b32_e32 v5, 16, v2
	s_wait_loadcnt 0x0
	v_lshrrev_b32_e32 v6, 16, v4
	s_delay_alu instid0(VALU_DEP_1) | instskip(SKIP_1) | instid1(VALU_DEP_2)
	v_mul_f16_e32 v7, v5, v6
	v_mul_f16_e32 v6, v2, v6
	v_fmac_f16_e32 v7, v2, v4
	s_delay_alu instid0(VALU_DEP_2) | instskip(NEXT) | instid1(VALU_DEP_2)
	v_fma_f16 v2, v4, v5, -v6
	v_cvt_f32_f16_e32 v4, v7
	s_delay_alu instid0(VALU_DEP_2) | instskip(NEXT) | instid1(VALU_DEP_2)
	v_cvt_f32_f16_e32 v2, v2
	v_cvt_f64_f32_e32 v[4:5], v4
	s_delay_alu instid0(VALU_DEP_2) | instskip(NEXT) | instid1(VALU_DEP_2)
	v_cvt_f64_f32_e32 v[6:7], v2
	v_mul_f64_e32 v[4:5], s[10:11], v[4:5]
	s_delay_alu instid0(VALU_DEP_2) | instskip(NEXT) | instid1(VALU_DEP_2)
	v_mul_f64_e32 v[6:7], s[10:11], v[6:7]
	v_and_or_b32 v2, 0x1ff, v5, v4
	s_delay_alu instid0(VALU_DEP_2)
	v_and_or_b32 v6, 0x1ff, v7, v6
	v_lshrrev_b32_e32 v4, 8, v5
	v_bfe_u32 v8, v5, 20, 11
	v_lshrrev_b32_e32 v9, 8, v7
	v_cmp_ne_u32_e32 vcc_lo, 0, v2
	v_bfe_u32 v10, v7, 20, 11
	v_lshrrev_b32_e32 v5, 16, v5
	v_sub_nc_u32_e32 v11, 0x3f1, v8
	v_lshrrev_b32_e32 v7, 16, v7
	s_wait_alu 0xfffd
	v_cndmask_b32_e64 v2, 0, 1, vcc_lo
	v_cmp_ne_u32_e32 vcc_lo, 0, v6
	s_delay_alu instid0(VALU_DEP_2) | instskip(SKIP_4) | instid1(VALU_DEP_3)
	v_and_or_b32 v2, 0xffe, v4, v2
	s_wait_alu 0xfffd
	v_cndmask_b32_e64 v6, 0, 1, vcc_lo
	v_sub_nc_u32_e32 v4, 0x3f1, v10
	v_add_nc_u32_e32 v10, 0xfffffc10, v10
	v_and_or_b32 v6, 0xffe, v9, v6
	v_med3_i32 v9, v11, 0, 13
	v_or_b32_e32 v11, 0x1000, v2
	v_med3_i32 v4, v4, 0, 13
	s_delay_alu instid0(VALU_DEP_4) | instskip(NEXT) | instid1(VALU_DEP_3)
	v_or_b32_e32 v12, 0x1000, v6
	v_lshrrev_b32_e32 v13, v9, v11
	s_delay_alu instid0(VALU_DEP_2) | instskip(NEXT) | instid1(VALU_DEP_2)
	v_lshrrev_b32_e32 v14, v4, v12
	v_lshlrev_b32_e32 v9, v9, v13
	s_delay_alu instid0(VALU_DEP_2) | instskip(NEXT) | instid1(VALU_DEP_2)
	v_lshlrev_b32_e32 v4, v4, v14
	v_cmp_ne_u32_e32 vcc_lo, v9, v11
	s_wait_alu 0xfffd
	v_cndmask_b32_e64 v9, 0, 1, vcc_lo
	s_delay_alu instid0(VALU_DEP_3) | instskip(SKIP_1) | instid1(VALU_DEP_3)
	v_cmp_ne_u32_e32 vcc_lo, v4, v12
	v_lshl_or_b32 v12, v10, 12, v6
	v_or_b32_e32 v9, v13, v9
	v_add_nc_u32_e32 v8, 0xfffffc10, v8
	s_wait_alu 0xfffd
	v_cndmask_b32_e64 v4, 0, 1, vcc_lo
	s_delay_alu instid0(VALU_DEP_2) | instskip(SKIP_1) | instid1(VALU_DEP_3)
	v_lshl_or_b32 v11, v8, 12, v2
	v_cmp_gt_i32_e32 vcc_lo, 1, v8
	v_or_b32_e32 v4, v14, v4
	s_wait_alu 0xfffd
	s_delay_alu instid0(VALU_DEP_3) | instskip(SKIP_2) | instid1(VALU_DEP_2)
	v_cndmask_b32_e32 v9, v11, v9, vcc_lo
	v_cmp_gt_i32_e32 vcc_lo, 1, v10
	s_wait_alu 0xfffd
	v_dual_cndmask_b32 v4, v12, v4 :: v_dual_and_b32 v11, 7, v9
	v_cmp_ne_u32_e32 vcc_lo, 0, v2
	v_lshrrev_b32_e32 v9, 2, v9
	s_delay_alu instid0(VALU_DEP_3) | instskip(SKIP_3) | instid1(VALU_DEP_2)
	v_cmp_eq_u32_e64 s0, 3, v11
	s_wait_alu 0xfffd
	v_cndmask_b32_e64 v2, 0, 1, vcc_lo
	v_cmp_ne_u32_e32 vcc_lo, 0, v6
	v_lshl_or_b32 v2, v2, 9, 0x7c00
	s_wait_alu 0xfffd
	v_cndmask_b32_e64 v6, 0, 1, vcc_lo
	v_cmp_lt_i32_e32 vcc_lo, 5, v11
	s_delay_alu instid0(VALU_DEP_2)
	v_lshl_or_b32 v6, v6, 9, 0x7c00
	s_or_b32 vcc_lo, s0, vcc_lo
	s_wait_alu 0xfffe
	v_add_co_ci_u32_e32 v9, vcc_lo, 0, v9, vcc_lo
	v_and_b32_e32 v12, 7, v4
	v_lshrrev_b32_e32 v4, 2, v4
	s_delay_alu instid0(VALU_DEP_2) | instskip(SKIP_1) | instid1(VALU_DEP_1)
	v_cmp_lt_i32_e64 s1, 5, v12
	v_cmp_eq_u32_e64 s2, 3, v12
	s_or_b32 vcc_lo, s2, s1
	s_wait_alu 0xfffe
	v_add_co_ci_u32_e32 v4, vcc_lo, 0, v4, vcc_lo
	v_cmp_gt_i32_e32 vcc_lo, 31, v8
	s_wait_alu 0xfffd
	v_cndmask_b32_e32 v9, 0x7c00, v9, vcc_lo
	v_cmp_gt_i32_e32 vcc_lo, 31, v10
	s_wait_alu 0xfffd
	v_cndmask_b32_e32 v4, 0x7c00, v4, vcc_lo
	v_cmp_eq_u32_e32 vcc_lo, 0x40f, v8
	s_wait_alu 0xfffd
	v_cndmask_b32_e32 v2, v9, v2, vcc_lo
	v_cmp_eq_u32_e32 vcc_lo, 0x40f, v10
	s_delay_alu instid0(VALU_DEP_2)
	v_and_or_b32 v2, 0x8000, v5, v2
	s_wait_alu 0xfffd
	v_cndmask_b32_e32 v4, v4, v6, vcc_lo
	v_add_co_u32 v0, vcc_lo, v0, s4
	s_wait_alu 0xfffd
	v_add_co_ci_u32_e32 v1, vcc_lo, s5, v1, vcc_lo
	s_delay_alu instid0(VALU_DEP_3) | instskip(SKIP_1) | instid1(VALU_DEP_1)
	v_and_or_b32 v4, 0x8000, v7, v4
	v_and_b32_e32 v2, 0xffff, v2
	v_lshl_or_b32 v2, v4, 16, v2
	v_lshrrev_b32_e32 v4, 16, v3
	global_store_b32 v[0:1], v2, off
	global_load_b32 v2, v41, s[8:9] offset:2800
	s_wait_loadcnt 0x0
	v_lshrrev_b32_e32 v5, 16, v2
	s_delay_alu instid0(VALU_DEP_1) | instskip(SKIP_1) | instid1(VALU_DEP_2)
	v_mul_f16_e32 v6, v4, v5
	v_mul_f16_e32 v5, v3, v5
	v_fmac_f16_e32 v6, v3, v2
	s_delay_alu instid0(VALU_DEP_2) | instskip(NEXT) | instid1(VALU_DEP_2)
	v_fma_f16 v2, v2, v4, -v5
	v_cvt_f32_f16_e32 v3, v6
	s_delay_alu instid0(VALU_DEP_2) | instskip(NEXT) | instid1(VALU_DEP_2)
	v_cvt_f32_f16_e32 v4, v2
	v_cvt_f64_f32_e32 v[2:3], v3
	s_delay_alu instid0(VALU_DEP_2) | instskip(NEXT) | instid1(VALU_DEP_2)
	v_cvt_f64_f32_e32 v[4:5], v4
	v_mul_f64_e32 v[2:3], s[10:11], v[2:3]
	s_delay_alu instid0(VALU_DEP_2) | instskip(NEXT) | instid1(VALU_DEP_2)
	v_mul_f64_e32 v[4:5], s[10:11], v[4:5]
	v_and_or_b32 v2, 0x1ff, v3, v2
	s_delay_alu instid0(VALU_DEP_2)
	v_and_or_b32 v4, 0x1ff, v5, v4
	v_lshrrev_b32_e32 v6, 8, v3
	v_bfe_u32 v7, v3, 20, 11
	v_lshrrev_b32_e32 v8, 8, v5
	v_cmp_ne_u32_e32 vcc_lo, 0, v2
	v_bfe_u32 v9, v5, 20, 11
	v_lshrrev_b32_e32 v3, 16, v3
	v_sub_nc_u32_e32 v10, 0x3f1, v7
	v_add_nc_u32_e32 v7, 0xfffffc10, v7
	s_wait_alu 0xfffd
	v_cndmask_b32_e64 v2, 0, 1, vcc_lo
	v_cmp_ne_u32_e32 vcc_lo, 0, v4
	v_lshrrev_b32_e32 v5, 16, v5
	s_delay_alu instid0(VALU_DEP_3) | instskip(SKIP_4) | instid1(VALU_DEP_3)
	v_and_or_b32 v2, 0xffe, v6, v2
	s_wait_alu 0xfffd
	v_cndmask_b32_e64 v4, 0, 1, vcc_lo
	v_sub_nc_u32_e32 v6, 0x3f1, v9
	v_add_nc_u32_e32 v9, 0xfffffc10, v9
	v_and_or_b32 v4, 0xffe, v8, v4
	v_med3_i32 v8, v10, 0, 13
	v_or_b32_e32 v10, 0x1000, v2
	v_med3_i32 v6, v6, 0, 13
	s_delay_alu instid0(VALU_DEP_4) | instskip(NEXT) | instid1(VALU_DEP_3)
	v_or_b32_e32 v11, 0x1000, v4
	v_lshrrev_b32_e32 v12, v8, v10
	s_delay_alu instid0(VALU_DEP_2) | instskip(NEXT) | instid1(VALU_DEP_2)
	v_lshrrev_b32_e32 v13, v6, v11
	v_lshlrev_b32_e32 v8, v8, v12
	s_delay_alu instid0(VALU_DEP_2) | instskip(NEXT) | instid1(VALU_DEP_2)
	v_lshlrev_b32_e32 v6, v6, v13
	v_cmp_ne_u32_e32 vcc_lo, v8, v10
	v_lshl_or_b32 v10, v7, 12, v2
	s_wait_alu 0xfffd
	v_cndmask_b32_e64 v8, 0, 1, vcc_lo
	v_cmp_ne_u32_e32 vcc_lo, v6, v11
	v_lshl_or_b32 v11, v9, 12, v4
	s_delay_alu instid0(VALU_DEP_3) | instskip(SKIP_3) | instid1(VALU_DEP_2)
	v_or_b32_e32 v8, v12, v8
	s_wait_alu 0xfffd
	v_cndmask_b32_e64 v6, 0, 1, vcc_lo
	v_cmp_gt_i32_e32 vcc_lo, 1, v7
	v_or_b32_e32 v6, v13, v6
	s_wait_alu 0xfffd
	v_cndmask_b32_e32 v8, v10, v8, vcc_lo
	v_cmp_gt_i32_e32 vcc_lo, 1, v9
	s_delay_alu instid0(VALU_DEP_2)
	v_and_b32_e32 v10, 7, v8
	s_wait_alu 0xfffd
	v_cndmask_b32_e32 v6, v11, v6, vcc_lo
	v_cmp_ne_u32_e32 vcc_lo, 0, v2
	v_lshrrev_b32_e32 v8, 2, v8
	v_cmp_eq_u32_e64 s0, 3, v10
	s_delay_alu instid0(VALU_DEP_4)
	v_and_b32_e32 v11, 7, v6
	s_wait_alu 0xfffd
	v_cndmask_b32_e64 v2, 0, 1, vcc_lo
	v_cmp_ne_u32_e32 vcc_lo, 0, v4
	v_lshrrev_b32_e32 v6, 2, v6
	v_cmp_lt_i32_e64 s1, 5, v11
	v_cmp_eq_u32_e64 s2, 3, v11
	s_wait_alu 0xfffd
	v_cndmask_b32_e64 v4, 0, 1, vcc_lo
	v_cmp_lt_i32_e32 vcc_lo, 5, v10
	v_lshl_or_b32 v2, v2, 9, 0x7c00
	s_delay_alu instid0(VALU_DEP_3)
	v_lshl_or_b32 v4, v4, 9, 0x7c00
	s_or_b32 vcc_lo, s0, vcc_lo
	s_wait_alu 0xfffe
	v_add_co_ci_u32_e32 v8, vcc_lo, 0, v8, vcc_lo
	s_or_b32 vcc_lo, s2, s1
	s_wait_alu 0xfffe
	v_add_co_ci_u32_e32 v6, vcc_lo, 0, v6, vcc_lo
	v_cmp_gt_i32_e32 vcc_lo, 31, v7
	s_wait_alu 0xfffd
	v_cndmask_b32_e32 v8, 0x7c00, v8, vcc_lo
	v_cmp_gt_i32_e32 vcc_lo, 31, v9
	s_wait_alu 0xfffd
	v_cndmask_b32_e32 v6, 0x7c00, v6, vcc_lo
	v_cmp_eq_u32_e32 vcc_lo, 0x40f, v7
	s_wait_alu 0xfffd
	v_cndmask_b32_e32 v2, v8, v2, vcc_lo
	v_cmp_eq_u32_e32 vcc_lo, 0x40f, v9
	v_add_nc_u32_e32 v8, 0xc00, v44
	s_delay_alu instid0(VALU_DEP_3)
	v_and_or_b32 v2, 0x8000, v3, v2
	s_wait_alu 0xfffd
	v_cndmask_b32_e32 v4, v6, v4, vcc_lo
	v_add_co_u32 v0, vcc_lo, v0, s4
	s_wait_alu 0xfffd
	v_add_co_ci_u32_e32 v1, vcc_lo, s5, v1, vcc_lo
	s_delay_alu instid0(VALU_DEP_3) | instskip(SKIP_1) | instid1(VALU_DEP_1)
	v_and_or_b32 v3, 0x8000, v5, v4
	v_and_b32_e32 v2, 0xffff, v2
	v_lshl_or_b32 v2, v3, 16, v2
	global_store_b32 v[0:1], v2, off
	global_load_b32 v4, v41, s[8:9] offset:3080
	ds_load_2addr_b32 v[2:3], v8 offset0:2 offset1:72
	s_wait_dscnt 0x0
	v_lshrrev_b32_e32 v5, 16, v2
	s_wait_loadcnt 0x0
	v_lshrrev_b32_e32 v6, 16, v4
	s_delay_alu instid0(VALU_DEP_1) | instskip(SKIP_1) | instid1(VALU_DEP_2)
	v_mul_f16_e32 v7, v5, v6
	v_mul_f16_e32 v6, v2, v6
	v_fmac_f16_e32 v7, v2, v4
	s_delay_alu instid0(VALU_DEP_2) | instskip(NEXT) | instid1(VALU_DEP_2)
	v_fma_f16 v2, v4, v5, -v6
	v_cvt_f32_f16_e32 v4, v7
	s_delay_alu instid0(VALU_DEP_2) | instskip(NEXT) | instid1(VALU_DEP_2)
	v_cvt_f32_f16_e32 v2, v2
	v_cvt_f64_f32_e32 v[4:5], v4
	s_delay_alu instid0(VALU_DEP_2) | instskip(NEXT) | instid1(VALU_DEP_2)
	v_cvt_f64_f32_e32 v[6:7], v2
	v_mul_f64_e32 v[4:5], s[10:11], v[4:5]
	s_delay_alu instid0(VALU_DEP_2) | instskip(NEXT) | instid1(VALU_DEP_2)
	v_mul_f64_e32 v[6:7], s[10:11], v[6:7]
	v_and_or_b32 v2, 0x1ff, v5, v4
	s_delay_alu instid0(VALU_DEP_2)
	v_and_or_b32 v6, 0x1ff, v7, v6
	v_lshrrev_b32_e32 v4, 8, v5
	v_bfe_u32 v9, v5, 20, 11
	v_lshrrev_b32_e32 v10, 8, v7
	v_cmp_ne_u32_e32 vcc_lo, 0, v2
	v_bfe_u32 v11, v7, 20, 11
	v_lshrrev_b32_e32 v5, 16, v5
	v_sub_nc_u32_e32 v12, 0x3f1, v9
	v_add_nc_u32_e32 v9, 0xfffffc10, v9
	s_wait_alu 0xfffd
	v_cndmask_b32_e64 v2, 0, 1, vcc_lo
	v_cmp_ne_u32_e32 vcc_lo, 0, v6
	v_lshrrev_b32_e32 v7, 16, v7
	s_delay_alu instid0(VALU_DEP_3) | instskip(SKIP_4) | instid1(VALU_DEP_3)
	v_and_or_b32 v2, 0xffe, v4, v2
	s_wait_alu 0xfffd
	v_cndmask_b32_e64 v6, 0, 1, vcc_lo
	v_sub_nc_u32_e32 v4, 0x3f1, v11
	v_add_nc_u32_e32 v11, 0xfffffc10, v11
	v_and_or_b32 v6, 0xffe, v10, v6
	v_med3_i32 v10, v12, 0, 13
	v_or_b32_e32 v12, 0x1000, v2
	v_med3_i32 v4, v4, 0, 13
	s_delay_alu instid0(VALU_DEP_4) | instskip(NEXT) | instid1(VALU_DEP_3)
	v_or_b32_e32 v13, 0x1000, v6
	v_lshrrev_b32_e32 v14, v10, v12
	s_delay_alu instid0(VALU_DEP_2) | instskip(NEXT) | instid1(VALU_DEP_2)
	v_lshrrev_b32_e32 v15, v4, v13
	v_lshlrev_b32_e32 v10, v10, v14
	s_delay_alu instid0(VALU_DEP_2) | instskip(NEXT) | instid1(VALU_DEP_2)
	v_lshlrev_b32_e32 v4, v4, v15
	v_cmp_ne_u32_e32 vcc_lo, v10, v12
	v_lshl_or_b32 v12, v9, 12, v2
	s_wait_alu 0xfffd
	v_cndmask_b32_e64 v10, 0, 1, vcc_lo
	v_cmp_ne_u32_e32 vcc_lo, v4, v13
	v_lshl_or_b32 v13, v11, 12, v6
	s_delay_alu instid0(VALU_DEP_3) | instskip(SKIP_3) | instid1(VALU_DEP_2)
	v_or_b32_e32 v10, v14, v10
	s_wait_alu 0xfffd
	v_cndmask_b32_e64 v4, 0, 1, vcc_lo
	v_cmp_gt_i32_e32 vcc_lo, 1, v9
	v_or_b32_e32 v4, v15, v4
	s_wait_alu 0xfffd
	v_cndmask_b32_e32 v10, v12, v10, vcc_lo
	v_cmp_gt_i32_e32 vcc_lo, 1, v11
	s_delay_alu instid0(VALU_DEP_2)
	v_and_b32_e32 v12, 7, v10
	s_wait_alu 0xfffd
	v_cndmask_b32_e32 v4, v13, v4, vcc_lo
	v_cmp_ne_u32_e32 vcc_lo, 0, v2
	v_lshrrev_b32_e32 v10, 2, v10
	v_cmp_eq_u32_e64 s0, 3, v12
	s_delay_alu instid0(VALU_DEP_4)
	v_and_b32_e32 v13, 7, v4
	s_wait_alu 0xfffd
	v_cndmask_b32_e64 v2, 0, 1, vcc_lo
	v_cmp_ne_u32_e32 vcc_lo, 0, v6
	v_lshrrev_b32_e32 v4, 2, v4
	v_cmp_lt_i32_e64 s1, 5, v13
	v_cmp_eq_u32_e64 s2, 3, v13
	s_wait_alu 0xfffd
	v_cndmask_b32_e64 v6, 0, 1, vcc_lo
	v_cmp_lt_i32_e32 vcc_lo, 5, v12
	v_lshl_or_b32 v2, v2, 9, 0x7c00
	s_delay_alu instid0(VALU_DEP_3)
	v_lshl_or_b32 v6, v6, 9, 0x7c00
	s_or_b32 vcc_lo, s0, vcc_lo
	s_wait_alu 0xfffe
	v_add_co_ci_u32_e32 v10, vcc_lo, 0, v10, vcc_lo
	s_or_b32 vcc_lo, s2, s1
	s_wait_alu 0xfffe
	v_add_co_ci_u32_e32 v4, vcc_lo, 0, v4, vcc_lo
	v_cmp_gt_i32_e32 vcc_lo, 31, v9
	s_wait_alu 0xfffd
	v_cndmask_b32_e32 v10, 0x7c00, v10, vcc_lo
	v_cmp_gt_i32_e32 vcc_lo, 31, v11
	s_wait_alu 0xfffd
	v_cndmask_b32_e32 v4, 0x7c00, v4, vcc_lo
	v_cmp_eq_u32_e32 vcc_lo, 0x40f, v9
	s_wait_alu 0xfffd
	v_cndmask_b32_e32 v2, v10, v2, vcc_lo
	v_cmp_eq_u32_e32 vcc_lo, 0x40f, v11
	s_delay_alu instid0(VALU_DEP_2)
	v_and_or_b32 v2, 0x8000, v5, v2
	s_wait_alu 0xfffd
	v_cndmask_b32_e32 v4, v4, v6, vcc_lo
	v_add_co_u32 v0, vcc_lo, v0, s4
	s_wait_alu 0xfffd
	v_add_co_ci_u32_e32 v1, vcc_lo, s5, v1, vcc_lo
	s_delay_alu instid0(VALU_DEP_3) | instskip(SKIP_1) | instid1(VALU_DEP_1)
	v_and_or_b32 v4, 0x8000, v7, v4
	v_and_b32_e32 v2, 0xffff, v2
	v_lshl_or_b32 v2, v4, 16, v2
	v_lshrrev_b32_e32 v4, 16, v3
	global_store_b32 v[0:1], v2, off
	global_load_b32 v2, v41, s[8:9] offset:3360
	s_wait_loadcnt 0x0
	v_lshrrev_b32_e32 v5, 16, v2
	s_delay_alu instid0(VALU_DEP_1) | instskip(SKIP_1) | instid1(VALU_DEP_2)
	v_mul_f16_e32 v6, v4, v5
	v_mul_f16_e32 v5, v3, v5
	v_fmac_f16_e32 v6, v3, v2
	s_delay_alu instid0(VALU_DEP_2) | instskip(NEXT) | instid1(VALU_DEP_2)
	v_fma_f16 v2, v2, v4, -v5
	v_cvt_f32_f16_e32 v3, v6
	s_delay_alu instid0(VALU_DEP_2) | instskip(NEXT) | instid1(VALU_DEP_2)
	v_cvt_f32_f16_e32 v4, v2
	v_cvt_f64_f32_e32 v[2:3], v3
	s_delay_alu instid0(VALU_DEP_2) | instskip(NEXT) | instid1(VALU_DEP_2)
	v_cvt_f64_f32_e32 v[4:5], v4
	v_mul_f64_e32 v[2:3], s[10:11], v[2:3]
	s_delay_alu instid0(VALU_DEP_2) | instskip(NEXT) | instid1(VALU_DEP_2)
	v_mul_f64_e32 v[4:5], s[10:11], v[4:5]
	v_and_or_b32 v2, 0x1ff, v3, v2
	s_delay_alu instid0(VALU_DEP_2)
	v_and_or_b32 v4, 0x1ff, v5, v4
	v_lshrrev_b32_e32 v6, 8, v3
	v_bfe_u32 v7, v3, 20, 11
	v_lshrrev_b32_e32 v9, 8, v5
	v_cmp_ne_u32_e32 vcc_lo, 0, v2
	v_bfe_u32 v10, v5, 20, 11
	v_lshrrev_b32_e32 v3, 16, v3
	v_sub_nc_u32_e32 v11, 0x3f1, v7
	v_add_nc_u32_e32 v7, 0xfffffc10, v7
	s_wait_alu 0xfffd
	v_cndmask_b32_e64 v2, 0, 1, vcc_lo
	v_cmp_ne_u32_e32 vcc_lo, 0, v4
	v_lshrrev_b32_e32 v5, 16, v5
	s_delay_alu instid0(VALU_DEP_3) | instskip(SKIP_4) | instid1(VALU_DEP_3)
	v_and_or_b32 v2, 0xffe, v6, v2
	s_wait_alu 0xfffd
	v_cndmask_b32_e64 v4, 0, 1, vcc_lo
	v_sub_nc_u32_e32 v6, 0x3f1, v10
	v_add_nc_u32_e32 v10, 0xfffffc10, v10
	v_and_or_b32 v4, 0xffe, v9, v4
	v_med3_i32 v9, v11, 0, 13
	v_or_b32_e32 v11, 0x1000, v2
	v_med3_i32 v6, v6, 0, 13
	s_delay_alu instid0(VALU_DEP_4) | instskip(NEXT) | instid1(VALU_DEP_3)
	v_or_b32_e32 v12, 0x1000, v4
	v_lshrrev_b32_e32 v13, v9, v11
	s_delay_alu instid0(VALU_DEP_2) | instskip(NEXT) | instid1(VALU_DEP_2)
	v_lshrrev_b32_e32 v14, v6, v12
	v_lshlrev_b32_e32 v9, v9, v13
	s_delay_alu instid0(VALU_DEP_2) | instskip(NEXT) | instid1(VALU_DEP_2)
	v_lshlrev_b32_e32 v6, v6, v14
	v_cmp_ne_u32_e32 vcc_lo, v9, v11
	v_lshl_or_b32 v11, v7, 12, v2
	s_wait_alu 0xfffd
	v_cndmask_b32_e64 v9, 0, 1, vcc_lo
	v_cmp_ne_u32_e32 vcc_lo, v6, v12
	v_lshl_or_b32 v12, v10, 12, v4
	s_delay_alu instid0(VALU_DEP_3) | instskip(SKIP_3) | instid1(VALU_DEP_2)
	v_or_b32_e32 v9, v13, v9
	s_wait_alu 0xfffd
	v_cndmask_b32_e64 v6, 0, 1, vcc_lo
	v_cmp_gt_i32_e32 vcc_lo, 1, v7
	v_or_b32_e32 v6, v14, v6
	s_wait_alu 0xfffd
	v_cndmask_b32_e32 v9, v11, v9, vcc_lo
	v_cmp_gt_i32_e32 vcc_lo, 1, v10
	s_wait_alu 0xfffd
	s_delay_alu instid0(VALU_DEP_2) | instskip(SKIP_2) | instid1(VALU_DEP_3)
	v_dual_cndmask_b32 v6, v12, v6 :: v_dual_and_b32 v11, 7, v9
	v_cmp_ne_u32_e32 vcc_lo, 0, v2
	v_lshrrev_b32_e32 v9, 2, v9
	v_cmp_eq_u32_e64 s0, 3, v11
	s_delay_alu instid0(VALU_DEP_4)
	v_and_b32_e32 v12, 7, v6
	s_wait_alu 0xfffd
	v_cndmask_b32_e64 v2, 0, 1, vcc_lo
	v_cmp_ne_u32_e32 vcc_lo, 0, v4
	v_lshrrev_b32_e32 v6, 2, v6
	v_cmp_lt_i32_e64 s1, 5, v12
	v_cmp_eq_u32_e64 s2, 3, v12
	s_wait_alu 0xfffd
	v_cndmask_b32_e64 v4, 0, 1, vcc_lo
	v_cmp_lt_i32_e32 vcc_lo, 5, v11
	v_lshl_or_b32 v2, v2, 9, 0x7c00
	s_delay_alu instid0(VALU_DEP_3)
	v_lshl_or_b32 v4, v4, 9, 0x7c00
	s_or_b32 vcc_lo, s0, vcc_lo
	s_wait_alu 0xfffe
	v_add_co_ci_u32_e32 v9, vcc_lo, 0, v9, vcc_lo
	s_or_b32 vcc_lo, s2, s1
	s_wait_alu 0xfffe
	v_add_co_ci_u32_e32 v6, vcc_lo, 0, v6, vcc_lo
	v_cmp_gt_i32_e32 vcc_lo, 31, v7
	s_wait_alu 0xfffd
	v_cndmask_b32_e32 v9, 0x7c00, v9, vcc_lo
	v_cmp_gt_i32_e32 vcc_lo, 31, v10
	s_wait_alu 0xfffd
	v_cndmask_b32_e32 v6, 0x7c00, v6, vcc_lo
	v_cmp_eq_u32_e32 vcc_lo, 0x40f, v7
	s_wait_alu 0xfffd
	v_cndmask_b32_e32 v2, v9, v2, vcc_lo
	v_cmp_eq_u32_e32 vcc_lo, 0x40f, v10
	s_delay_alu instid0(VALU_DEP_2)
	v_and_or_b32 v2, 0x8000, v3, v2
	s_wait_alu 0xfffd
	v_cndmask_b32_e32 v4, v6, v4, vcc_lo
	v_add_co_u32 v0, vcc_lo, v0, s4
	s_wait_alu 0xfffd
	v_add_co_ci_u32_e32 v1, vcc_lo, s5, v1, vcc_lo
	s_delay_alu instid0(VALU_DEP_3) | instskip(SKIP_1) | instid1(VALU_DEP_1)
	v_and_or_b32 v3, 0x8000, v5, v4
	v_and_b32_e32 v2, 0xffff, v2
	v_lshl_or_b32 v2, v3, 16, v2
	global_store_b32 v[0:1], v2, off
	global_load_b32 v4, v41, s[8:9] offset:3640
	ds_load_2addr_b32 v[2:3], v8 offset0:142 offset1:212
	s_wait_dscnt 0x0
	v_lshrrev_b32_e32 v5, 16, v2
	s_wait_loadcnt 0x0
	v_lshrrev_b32_e32 v6, 16, v4
	s_delay_alu instid0(VALU_DEP_1) | instskip(SKIP_1) | instid1(VALU_DEP_2)
	v_mul_f16_e32 v7, v5, v6
	v_mul_f16_e32 v6, v2, v6
	v_fmac_f16_e32 v7, v2, v4
	s_delay_alu instid0(VALU_DEP_2) | instskip(NEXT) | instid1(VALU_DEP_2)
	v_fma_f16 v2, v4, v5, -v6
	v_cvt_f32_f16_e32 v4, v7
	s_delay_alu instid0(VALU_DEP_2) | instskip(NEXT) | instid1(VALU_DEP_2)
	v_cvt_f32_f16_e32 v2, v2
	v_cvt_f64_f32_e32 v[4:5], v4
	s_delay_alu instid0(VALU_DEP_2) | instskip(NEXT) | instid1(VALU_DEP_2)
	v_cvt_f64_f32_e32 v[6:7], v2
	v_mul_f64_e32 v[4:5], s[10:11], v[4:5]
	s_delay_alu instid0(VALU_DEP_2) | instskip(NEXT) | instid1(VALU_DEP_2)
	v_mul_f64_e32 v[6:7], s[10:11], v[6:7]
	v_and_or_b32 v2, 0x1ff, v5, v4
	s_delay_alu instid0(VALU_DEP_2)
	v_and_or_b32 v6, 0x1ff, v7, v6
	v_lshrrev_b32_e32 v4, 8, v5
	v_bfe_u32 v8, v5, 20, 11
	v_lshrrev_b32_e32 v9, 8, v7
	v_cmp_ne_u32_e32 vcc_lo, 0, v2
	v_bfe_u32 v10, v7, 20, 11
	v_lshrrev_b32_e32 v5, 16, v5
	v_sub_nc_u32_e32 v11, 0x3f1, v8
	v_add_nc_u32_e32 v8, 0xfffffc10, v8
	s_wait_alu 0xfffd
	v_cndmask_b32_e64 v2, 0, 1, vcc_lo
	v_cmp_ne_u32_e32 vcc_lo, 0, v6
	v_lshrrev_b32_e32 v7, 16, v7
	s_delay_alu instid0(VALU_DEP_3) | instskip(SKIP_4) | instid1(VALU_DEP_3)
	v_and_or_b32 v2, 0xffe, v4, v2
	s_wait_alu 0xfffd
	v_cndmask_b32_e64 v6, 0, 1, vcc_lo
	v_sub_nc_u32_e32 v4, 0x3f1, v10
	v_add_nc_u32_e32 v10, 0xfffffc10, v10
	v_and_or_b32 v6, 0xffe, v9, v6
	v_med3_i32 v9, v11, 0, 13
	v_or_b32_e32 v11, 0x1000, v2
	v_med3_i32 v4, v4, 0, 13
	s_delay_alu instid0(VALU_DEP_4) | instskip(NEXT) | instid1(VALU_DEP_3)
	v_or_b32_e32 v12, 0x1000, v6
	v_lshrrev_b32_e32 v13, v9, v11
	s_delay_alu instid0(VALU_DEP_2) | instskip(NEXT) | instid1(VALU_DEP_2)
	v_lshrrev_b32_e32 v14, v4, v12
	v_lshlrev_b32_e32 v9, v9, v13
	s_delay_alu instid0(VALU_DEP_2) | instskip(NEXT) | instid1(VALU_DEP_2)
	v_lshlrev_b32_e32 v4, v4, v14
	v_cmp_ne_u32_e32 vcc_lo, v9, v11
	v_lshl_or_b32 v11, v8, 12, v2
	s_wait_alu 0xfffd
	v_cndmask_b32_e64 v9, 0, 1, vcc_lo
	v_cmp_ne_u32_e32 vcc_lo, v4, v12
	v_lshl_or_b32 v12, v10, 12, v6
	s_delay_alu instid0(VALU_DEP_3) | instskip(SKIP_3) | instid1(VALU_DEP_2)
	v_or_b32_e32 v9, v13, v9
	s_wait_alu 0xfffd
	v_cndmask_b32_e64 v4, 0, 1, vcc_lo
	v_cmp_gt_i32_e32 vcc_lo, 1, v8
	v_or_b32_e32 v4, v14, v4
	s_wait_alu 0xfffd
	v_cndmask_b32_e32 v9, v11, v9, vcc_lo
	v_cmp_gt_i32_e32 vcc_lo, 1, v10
	s_wait_alu 0xfffd
	s_delay_alu instid0(VALU_DEP_2) | instskip(SKIP_2) | instid1(VALU_DEP_3)
	v_dual_cndmask_b32 v4, v12, v4 :: v_dual_and_b32 v11, 7, v9
	v_cmp_ne_u32_e32 vcc_lo, 0, v2
	v_lshrrev_b32_e32 v9, 2, v9
	v_cmp_eq_u32_e64 s0, 3, v11
	s_delay_alu instid0(VALU_DEP_4)
	v_and_b32_e32 v12, 7, v4
	s_wait_alu 0xfffd
	v_cndmask_b32_e64 v2, 0, 1, vcc_lo
	v_cmp_ne_u32_e32 vcc_lo, 0, v6
	v_lshrrev_b32_e32 v4, 2, v4
	v_cmp_lt_i32_e64 s1, 5, v12
	v_cmp_eq_u32_e64 s2, 3, v12
	s_wait_alu 0xfffd
	v_cndmask_b32_e64 v6, 0, 1, vcc_lo
	v_cmp_lt_i32_e32 vcc_lo, 5, v11
	v_lshl_or_b32 v2, v2, 9, 0x7c00
	s_delay_alu instid0(VALU_DEP_3)
	v_lshl_or_b32 v6, v6, 9, 0x7c00
	s_or_b32 vcc_lo, s0, vcc_lo
	s_wait_alu 0xfffe
	v_add_co_ci_u32_e32 v9, vcc_lo, 0, v9, vcc_lo
	s_or_b32 vcc_lo, s2, s1
	s_wait_alu 0xfffe
	v_add_co_ci_u32_e32 v4, vcc_lo, 0, v4, vcc_lo
	v_cmp_gt_i32_e32 vcc_lo, 31, v8
	s_wait_alu 0xfffd
	v_cndmask_b32_e32 v9, 0x7c00, v9, vcc_lo
	v_cmp_gt_i32_e32 vcc_lo, 31, v10
	s_wait_alu 0xfffd
	v_cndmask_b32_e32 v4, 0x7c00, v4, vcc_lo
	v_cmp_eq_u32_e32 vcc_lo, 0x40f, v8
	s_wait_alu 0xfffd
	v_cndmask_b32_e32 v2, v9, v2, vcc_lo
	v_cmp_eq_u32_e32 vcc_lo, 0x40f, v10
	s_delay_alu instid0(VALU_DEP_2)
	v_and_or_b32 v2, 0x8000, v5, v2
	s_wait_alu 0xfffd
	v_cndmask_b32_e32 v4, v4, v6, vcc_lo
	v_add_co_u32 v0, vcc_lo, v0, s4
	s_wait_alu 0xfffd
	v_add_co_ci_u32_e32 v1, vcc_lo, s5, v1, vcc_lo
	s_delay_alu instid0(VALU_DEP_3) | instskip(SKIP_1) | instid1(VALU_DEP_1)
	v_and_or_b32 v4, 0x8000, v7, v4
	v_and_b32_e32 v2, 0xffff, v2
	v_lshl_or_b32 v2, v4, 16, v2
	v_lshrrev_b32_e32 v4, 16, v3
	global_store_b32 v[0:1], v2, off
	global_load_b32 v2, v41, s[8:9] offset:3920
	s_wait_loadcnt 0x0
	v_lshrrev_b32_e32 v5, 16, v2
	s_delay_alu instid0(VALU_DEP_1) | instskip(SKIP_1) | instid1(VALU_DEP_2)
	v_mul_f16_e32 v6, v4, v5
	v_mul_f16_e32 v5, v3, v5
	v_fmac_f16_e32 v6, v3, v2
	s_delay_alu instid0(VALU_DEP_2) | instskip(NEXT) | instid1(VALU_DEP_2)
	v_fma_f16 v2, v2, v4, -v5
	v_cvt_f32_f16_e32 v3, v6
	s_delay_alu instid0(VALU_DEP_2) | instskip(NEXT) | instid1(VALU_DEP_2)
	v_cvt_f32_f16_e32 v4, v2
	v_cvt_f64_f32_e32 v[2:3], v3
	s_delay_alu instid0(VALU_DEP_2) | instskip(NEXT) | instid1(VALU_DEP_2)
	v_cvt_f64_f32_e32 v[4:5], v4
	v_mul_f64_e32 v[2:3], s[10:11], v[2:3]
	s_delay_alu instid0(VALU_DEP_2) | instskip(NEXT) | instid1(VALU_DEP_2)
	v_mul_f64_e32 v[4:5], s[10:11], v[4:5]
	v_and_or_b32 v2, 0x1ff, v3, v2
	s_delay_alu instid0(VALU_DEP_2)
	v_and_or_b32 v4, 0x1ff, v5, v4
	v_lshrrev_b32_e32 v6, 8, v3
	v_bfe_u32 v7, v3, 20, 11
	v_lshrrev_b32_e32 v8, 8, v5
	v_cmp_ne_u32_e32 vcc_lo, 0, v2
	v_bfe_u32 v9, v5, 20, 11
	v_lshrrev_b32_e32 v3, 16, v3
	v_sub_nc_u32_e32 v10, 0x3f1, v7
	v_lshrrev_b32_e32 v5, 16, v5
	s_wait_alu 0xfffd
	v_cndmask_b32_e64 v2, 0, 1, vcc_lo
	v_cmp_ne_u32_e32 vcc_lo, 0, v4
	s_delay_alu instid0(VALU_DEP_2) | instskip(SKIP_4) | instid1(VALU_DEP_3)
	v_and_or_b32 v2, 0xffe, v6, v2
	s_wait_alu 0xfffd
	v_cndmask_b32_e64 v4, 0, 1, vcc_lo
	v_sub_nc_u32_e32 v6, 0x3f1, v9
	v_add_nc_u32_e32 v9, 0xfffffc10, v9
	v_and_or_b32 v4, 0xffe, v8, v4
	v_med3_i32 v8, v10, 0, 13
	v_or_b32_e32 v10, 0x1000, v2
	v_med3_i32 v6, v6, 0, 13
	s_delay_alu instid0(VALU_DEP_4) | instskip(NEXT) | instid1(VALU_DEP_3)
	v_or_b32_e32 v11, 0x1000, v4
	v_lshrrev_b32_e32 v12, v8, v10
	s_delay_alu instid0(VALU_DEP_2) | instskip(NEXT) | instid1(VALU_DEP_2)
	v_lshrrev_b32_e32 v13, v6, v11
	v_lshlrev_b32_e32 v8, v8, v12
	s_delay_alu instid0(VALU_DEP_2) | instskip(NEXT) | instid1(VALU_DEP_2)
	v_lshlrev_b32_e32 v6, v6, v13
	v_cmp_ne_u32_e32 vcc_lo, v8, v10
	s_wait_alu 0xfffd
	v_cndmask_b32_e64 v8, 0, 1, vcc_lo
	s_delay_alu instid0(VALU_DEP_3) | instskip(SKIP_1) | instid1(VALU_DEP_3)
	v_cmp_ne_u32_e32 vcc_lo, v6, v11
	v_lshl_or_b32 v11, v9, 12, v4
	v_or_b32_e32 v8, v12, v8
	s_wait_alu 0xfffd
	v_cndmask_b32_e64 v6, 0, 1, vcc_lo
	s_delay_alu instid0(VALU_DEP_1) | instskip(SKIP_1) | instid1(VALU_DEP_1)
	v_or_b32_e32 v6, v13, v6
	v_add_nc_u32_e32 v7, 0xfffffc10, v7
	v_lshl_or_b32 v10, v7, 12, v2
	v_cmp_gt_i32_e32 vcc_lo, 1, v7
	s_wait_alu 0xfffd
	s_delay_alu instid0(VALU_DEP_2) | instskip(SKIP_1) | instid1(VALU_DEP_2)
	v_cndmask_b32_e32 v8, v10, v8, vcc_lo
	v_cmp_gt_i32_e32 vcc_lo, 1, v9
	v_and_b32_e32 v10, 7, v8
	s_wait_alu 0xfffd
	v_cndmask_b32_e32 v6, v11, v6, vcc_lo
	v_cmp_ne_u32_e32 vcc_lo, 0, v2
	v_lshrrev_b32_e32 v8, 2, v8
	v_cmp_eq_u32_e64 s0, 3, v10
	s_wait_alu 0xfffd
	v_cndmask_b32_e64 v2, 0, 1, vcc_lo
	v_cmp_ne_u32_e32 vcc_lo, 0, v4
	s_delay_alu instid0(VALU_DEP_2) | instskip(SKIP_3) | instid1(VALU_DEP_2)
	v_lshl_or_b32 v2, v2, 9, 0x7c00
	s_wait_alu 0xfffd
	v_cndmask_b32_e64 v4, 0, 1, vcc_lo
	v_cmp_lt_i32_e32 vcc_lo, 5, v10
	v_lshl_or_b32 v4, v4, 9, 0x7c00
	s_or_b32 vcc_lo, s0, vcc_lo
	s_wait_alu 0xfffe
	v_add_co_ci_u32_e32 v8, vcc_lo, 0, v8, vcc_lo
	v_and_b32_e32 v11, 7, v6
	v_lshrrev_b32_e32 v6, 2, v6
	s_delay_alu instid0(VALU_DEP_2) | instskip(SKIP_1) | instid1(VALU_DEP_1)
	v_cmp_lt_i32_e64 s1, 5, v11
	v_cmp_eq_u32_e64 s2, 3, v11
	s_or_b32 vcc_lo, s2, s1
	s_wait_alu 0xfffe
	v_add_co_ci_u32_e32 v6, vcc_lo, 0, v6, vcc_lo
	v_cmp_gt_i32_e32 vcc_lo, 31, v7
	s_wait_alu 0xfffd
	v_cndmask_b32_e32 v8, 0x7c00, v8, vcc_lo
	v_cmp_gt_i32_e32 vcc_lo, 31, v9
	s_wait_alu 0xfffd
	v_cndmask_b32_e32 v6, 0x7c00, v6, vcc_lo
	v_cmp_eq_u32_e32 vcc_lo, 0x40f, v7
	s_wait_alu 0xfffd
	v_cndmask_b32_e32 v2, v8, v2, vcc_lo
	v_cmp_eq_u32_e32 vcc_lo, 0x40f, v9
	s_delay_alu instid0(VALU_DEP_2)
	v_and_or_b32 v2, 0x8000, v3, v2
	s_wait_alu 0xfffd
	v_cndmask_b32_e32 v4, v6, v4, vcc_lo
	v_add_co_u32 v0, vcc_lo, v0, s4
	s_wait_alu 0xfffd
	v_add_co_ci_u32_e32 v1, vcc_lo, s5, v1, vcc_lo
	s_delay_alu instid0(VALU_DEP_3) | instskip(SKIP_1) | instid1(VALU_DEP_1)
	v_and_or_b32 v3, 0x8000, v5, v4
	v_and_b32_e32 v2, 0xffff, v2
	v_lshl_or_b32 v2, v3, 16, v2
	global_store_b32 v[0:1], v2, off
	global_load_b32 v4, v41, s[8:9] offset:4200
	v_add_nc_u32_e32 v2, 0x1000, v44
	ds_load_2addr_b32 v[2:3], v2 offset0:26 offset1:96
	s_wait_dscnt 0x0
	v_lshrrev_b32_e32 v5, 16, v2
	s_wait_loadcnt 0x0
	v_lshrrev_b32_e32 v6, 16, v4
	s_delay_alu instid0(VALU_DEP_1) | instskip(SKIP_1) | instid1(VALU_DEP_2)
	v_mul_f16_e32 v7, v5, v6
	v_mul_f16_e32 v6, v2, v6
	v_fmac_f16_e32 v7, v2, v4
	s_delay_alu instid0(VALU_DEP_2) | instskip(NEXT) | instid1(VALU_DEP_2)
	v_fma_f16 v2, v4, v5, -v6
	v_cvt_f32_f16_e32 v4, v7
	s_delay_alu instid0(VALU_DEP_2) | instskip(NEXT) | instid1(VALU_DEP_2)
	v_cvt_f32_f16_e32 v2, v2
	v_cvt_f64_f32_e32 v[4:5], v4
	s_delay_alu instid0(VALU_DEP_2) | instskip(NEXT) | instid1(VALU_DEP_2)
	v_cvt_f64_f32_e32 v[6:7], v2
	v_mul_f64_e32 v[4:5], s[10:11], v[4:5]
	s_delay_alu instid0(VALU_DEP_2) | instskip(NEXT) | instid1(VALU_DEP_2)
	v_mul_f64_e32 v[6:7], s[10:11], v[6:7]
	v_and_or_b32 v2, 0x1ff, v5, v4
	s_delay_alu instid0(VALU_DEP_2)
	v_and_or_b32 v6, 0x1ff, v7, v6
	v_lshrrev_b32_e32 v4, 8, v5
	v_bfe_u32 v8, v5, 20, 11
	v_lshrrev_b32_e32 v9, 8, v7
	v_cmp_ne_u32_e32 vcc_lo, 0, v2
	v_bfe_u32 v10, v7, 20, 11
	v_lshrrev_b32_e32 v5, 16, v5
	v_sub_nc_u32_e32 v11, 0x3f1, v8
	v_add_nc_u32_e32 v8, 0xfffffc10, v8
	s_wait_alu 0xfffd
	v_cndmask_b32_e64 v2, 0, 1, vcc_lo
	v_cmp_ne_u32_e32 vcc_lo, 0, v6
	v_lshrrev_b32_e32 v7, 16, v7
	s_delay_alu instid0(VALU_DEP_3) | instskip(SKIP_4) | instid1(VALU_DEP_3)
	v_and_or_b32 v2, 0xffe, v4, v2
	s_wait_alu 0xfffd
	v_cndmask_b32_e64 v6, 0, 1, vcc_lo
	v_sub_nc_u32_e32 v4, 0x3f1, v10
	v_add_nc_u32_e32 v10, 0xfffffc10, v10
	v_and_or_b32 v6, 0xffe, v9, v6
	v_med3_i32 v9, v11, 0, 13
	v_or_b32_e32 v11, 0x1000, v2
	v_med3_i32 v4, v4, 0, 13
	s_delay_alu instid0(VALU_DEP_4) | instskip(NEXT) | instid1(VALU_DEP_3)
	v_or_b32_e32 v12, 0x1000, v6
	v_lshrrev_b32_e32 v13, v9, v11
	s_delay_alu instid0(VALU_DEP_2) | instskip(NEXT) | instid1(VALU_DEP_2)
	v_lshrrev_b32_e32 v14, v4, v12
	v_lshlrev_b32_e32 v9, v9, v13
	s_delay_alu instid0(VALU_DEP_2) | instskip(NEXT) | instid1(VALU_DEP_2)
	v_lshlrev_b32_e32 v4, v4, v14
	v_cmp_ne_u32_e32 vcc_lo, v9, v11
	v_lshl_or_b32 v11, v8, 12, v2
	s_wait_alu 0xfffd
	v_cndmask_b32_e64 v9, 0, 1, vcc_lo
	v_cmp_ne_u32_e32 vcc_lo, v4, v12
	v_lshl_or_b32 v12, v10, 12, v6
	s_delay_alu instid0(VALU_DEP_3) | instskip(SKIP_3) | instid1(VALU_DEP_2)
	v_or_b32_e32 v9, v13, v9
	s_wait_alu 0xfffd
	v_cndmask_b32_e64 v4, 0, 1, vcc_lo
	v_cmp_gt_i32_e32 vcc_lo, 1, v8
	v_or_b32_e32 v4, v14, v4
	s_wait_alu 0xfffd
	v_cndmask_b32_e32 v9, v11, v9, vcc_lo
	v_cmp_gt_i32_e32 vcc_lo, 1, v10
	s_wait_alu 0xfffd
	s_delay_alu instid0(VALU_DEP_2) | instskip(SKIP_2) | instid1(VALU_DEP_3)
	v_dual_cndmask_b32 v4, v12, v4 :: v_dual_and_b32 v11, 7, v9
	v_cmp_ne_u32_e32 vcc_lo, 0, v2
	v_lshrrev_b32_e32 v9, 2, v9
	v_cmp_eq_u32_e64 s0, 3, v11
	s_delay_alu instid0(VALU_DEP_4)
	v_and_b32_e32 v12, 7, v4
	s_wait_alu 0xfffd
	v_cndmask_b32_e64 v2, 0, 1, vcc_lo
	v_cmp_ne_u32_e32 vcc_lo, 0, v6
	v_lshrrev_b32_e32 v4, 2, v4
	v_cmp_lt_i32_e64 s1, 5, v12
	v_cmp_eq_u32_e64 s2, 3, v12
	s_wait_alu 0xfffd
	v_cndmask_b32_e64 v6, 0, 1, vcc_lo
	v_cmp_lt_i32_e32 vcc_lo, 5, v11
	v_lshl_or_b32 v2, v2, 9, 0x7c00
	s_delay_alu instid0(VALU_DEP_3)
	v_lshl_or_b32 v6, v6, 9, 0x7c00
	s_or_b32 vcc_lo, s0, vcc_lo
	s_wait_alu 0xfffe
	v_add_co_ci_u32_e32 v9, vcc_lo, 0, v9, vcc_lo
	s_or_b32 vcc_lo, s2, s1
	s_wait_alu 0xfffe
	v_add_co_ci_u32_e32 v4, vcc_lo, 0, v4, vcc_lo
	v_cmp_gt_i32_e32 vcc_lo, 31, v8
	s_wait_alu 0xfffd
	v_cndmask_b32_e32 v9, 0x7c00, v9, vcc_lo
	v_cmp_gt_i32_e32 vcc_lo, 31, v10
	s_wait_alu 0xfffd
	v_cndmask_b32_e32 v4, 0x7c00, v4, vcc_lo
	v_cmp_eq_u32_e32 vcc_lo, 0x40f, v8
	s_wait_alu 0xfffd
	v_cndmask_b32_e32 v2, v9, v2, vcc_lo
	v_cmp_eq_u32_e32 vcc_lo, 0x40f, v10
	s_delay_alu instid0(VALU_DEP_2)
	v_and_or_b32 v2, 0x8000, v5, v2
	s_wait_alu 0xfffd
	v_cndmask_b32_e32 v4, v4, v6, vcc_lo
	v_add_co_u32 v0, vcc_lo, v0, s4
	s_wait_alu 0xfffd
	v_add_co_ci_u32_e32 v1, vcc_lo, s5, v1, vcc_lo
	s_delay_alu instid0(VALU_DEP_3) | instskip(SKIP_1) | instid1(VALU_DEP_1)
	v_and_or_b32 v4, 0x8000, v7, v4
	v_and_b32_e32 v2, 0xffff, v2
	v_lshl_or_b32 v2, v4, 16, v2
	v_lshrrev_b32_e32 v4, 16, v3
	global_store_b32 v[0:1], v2, off
	global_load_b32 v2, v41, s[8:9] offset:4480
	s_wait_loadcnt 0x0
	v_lshrrev_b32_e32 v5, 16, v2
	s_delay_alu instid0(VALU_DEP_1) | instskip(SKIP_1) | instid1(VALU_DEP_2)
	v_mul_f16_e32 v6, v4, v5
	v_mul_f16_e32 v5, v3, v5
	v_fmac_f16_e32 v6, v3, v2
	s_delay_alu instid0(VALU_DEP_2) | instskip(NEXT) | instid1(VALU_DEP_2)
	v_fma_f16 v2, v2, v4, -v5
	v_cvt_f32_f16_e32 v3, v6
	s_delay_alu instid0(VALU_DEP_2) | instskip(NEXT) | instid1(VALU_DEP_2)
	v_cvt_f32_f16_e32 v4, v2
	v_cvt_f64_f32_e32 v[2:3], v3
	s_delay_alu instid0(VALU_DEP_2) | instskip(NEXT) | instid1(VALU_DEP_2)
	v_cvt_f64_f32_e32 v[4:5], v4
	v_mul_f64_e32 v[2:3], s[10:11], v[2:3]
	s_delay_alu instid0(VALU_DEP_2) | instskip(NEXT) | instid1(VALU_DEP_2)
	v_mul_f64_e32 v[4:5], s[10:11], v[4:5]
	v_and_or_b32 v2, 0x1ff, v3, v2
	s_delay_alu instid0(VALU_DEP_2)
	v_and_or_b32 v4, 0x1ff, v5, v4
	v_lshrrev_b32_e32 v6, 8, v3
	v_bfe_u32 v7, v3, 20, 11
	v_lshrrev_b32_e32 v8, 8, v5
	v_cmp_ne_u32_e32 vcc_lo, 0, v2
	v_bfe_u32 v9, v5, 20, 11
	v_lshrrev_b32_e32 v3, 16, v3
	v_sub_nc_u32_e32 v10, 0x3f1, v7
	v_add_nc_u32_e32 v7, 0xfffffc10, v7
	s_wait_alu 0xfffd
	v_cndmask_b32_e64 v2, 0, 1, vcc_lo
	v_cmp_ne_u32_e32 vcc_lo, 0, v4
	v_lshrrev_b32_e32 v5, 16, v5
	s_delay_alu instid0(VALU_DEP_3) | instskip(SKIP_4) | instid1(VALU_DEP_3)
	v_and_or_b32 v2, 0xffe, v6, v2
	s_wait_alu 0xfffd
	v_cndmask_b32_e64 v4, 0, 1, vcc_lo
	v_sub_nc_u32_e32 v6, 0x3f1, v9
	v_add_nc_u32_e32 v9, 0xfffffc10, v9
	v_and_or_b32 v4, 0xffe, v8, v4
	v_med3_i32 v8, v10, 0, 13
	v_or_b32_e32 v10, 0x1000, v2
	v_med3_i32 v6, v6, 0, 13
	s_delay_alu instid0(VALU_DEP_4) | instskip(NEXT) | instid1(VALU_DEP_3)
	v_or_b32_e32 v11, 0x1000, v4
	v_lshrrev_b32_e32 v12, v8, v10
	s_delay_alu instid0(VALU_DEP_2) | instskip(NEXT) | instid1(VALU_DEP_2)
	v_lshrrev_b32_e32 v13, v6, v11
	v_lshlrev_b32_e32 v8, v8, v12
	s_delay_alu instid0(VALU_DEP_2) | instskip(NEXT) | instid1(VALU_DEP_2)
	v_lshlrev_b32_e32 v6, v6, v13
	v_cmp_ne_u32_e32 vcc_lo, v8, v10
	v_lshl_or_b32 v10, v7, 12, v2
	s_wait_alu 0xfffd
	v_cndmask_b32_e64 v8, 0, 1, vcc_lo
	v_cmp_ne_u32_e32 vcc_lo, v6, v11
	v_lshl_or_b32 v11, v9, 12, v4
	s_delay_alu instid0(VALU_DEP_3) | instskip(SKIP_3) | instid1(VALU_DEP_2)
	v_or_b32_e32 v8, v12, v8
	s_wait_alu 0xfffd
	v_cndmask_b32_e64 v6, 0, 1, vcc_lo
	v_cmp_gt_i32_e32 vcc_lo, 1, v7
	v_or_b32_e32 v6, v13, v6
	s_wait_alu 0xfffd
	v_cndmask_b32_e32 v8, v10, v8, vcc_lo
	v_cmp_gt_i32_e32 vcc_lo, 1, v9
	s_delay_alu instid0(VALU_DEP_2)
	v_and_b32_e32 v10, 7, v8
	s_wait_alu 0xfffd
	v_cndmask_b32_e32 v6, v11, v6, vcc_lo
	v_cmp_ne_u32_e32 vcc_lo, 0, v2
	v_lshrrev_b32_e32 v8, 2, v8
	v_cmp_eq_u32_e64 s0, 3, v10
	s_delay_alu instid0(VALU_DEP_4)
	v_and_b32_e32 v11, 7, v6
	s_wait_alu 0xfffd
	v_cndmask_b32_e64 v2, 0, 1, vcc_lo
	v_cmp_ne_u32_e32 vcc_lo, 0, v4
	v_lshrrev_b32_e32 v6, 2, v6
	v_cmp_lt_i32_e64 s1, 5, v11
	v_cmp_eq_u32_e64 s2, 3, v11
	s_wait_alu 0xfffd
	v_cndmask_b32_e64 v4, 0, 1, vcc_lo
	v_cmp_lt_i32_e32 vcc_lo, 5, v10
	v_lshl_or_b32 v2, v2, 9, 0x7c00
	s_delay_alu instid0(VALU_DEP_3)
	v_lshl_or_b32 v4, v4, 9, 0x7c00
	s_or_b32 vcc_lo, s0, vcc_lo
	s_wait_alu 0xfffe
	v_add_co_ci_u32_e32 v8, vcc_lo, 0, v8, vcc_lo
	s_or_b32 vcc_lo, s2, s1
	s_wait_alu 0xfffe
	v_add_co_ci_u32_e32 v6, vcc_lo, 0, v6, vcc_lo
	v_cmp_gt_i32_e32 vcc_lo, 31, v7
	s_wait_alu 0xfffd
	v_cndmask_b32_e32 v8, 0x7c00, v8, vcc_lo
	v_cmp_gt_i32_e32 vcc_lo, 31, v9
	s_wait_alu 0xfffd
	v_cndmask_b32_e32 v6, 0x7c00, v6, vcc_lo
	v_cmp_eq_u32_e32 vcc_lo, 0x40f, v7
	s_wait_alu 0xfffd
	v_cndmask_b32_e32 v2, v8, v2, vcc_lo
	v_cmp_eq_u32_e32 vcc_lo, 0x40f, v9
	s_delay_alu instid0(VALU_DEP_2)
	v_and_or_b32 v2, 0x8000, v3, v2
	s_wait_alu 0xfffd
	v_cndmask_b32_e32 v4, v6, v4, vcc_lo
	v_add_co_u32 v0, vcc_lo, v0, s4
	s_wait_alu 0xfffd
	v_add_co_ci_u32_e32 v1, vcc_lo, s5, v1, vcc_lo
	s_delay_alu instid0(VALU_DEP_3) | instskip(SKIP_1) | instid1(VALU_DEP_1)
	v_and_or_b32 v3, 0x8000, v5, v4
	v_and_b32_e32 v2, 0xffff, v2
	v_lshl_or_b32 v2, v3, 16, v2
	global_store_b32 v[0:1], v2, off
.LBB0_23:
	s_nop 0
	s_sendmsg sendmsg(MSG_DEALLOC_VGPRS)
	s_endpgm
	.section	.rodata,"a",@progbits
	.p2align	6, 0x0
	.amdhsa_kernel bluestein_single_back_len1190_dim1_half_op_CI_CI
		.amdhsa_group_segment_fixed_size 14280
		.amdhsa_private_segment_fixed_size 0
		.amdhsa_kernarg_size 104
		.amdhsa_user_sgpr_count 2
		.amdhsa_user_sgpr_dispatch_ptr 0
		.amdhsa_user_sgpr_queue_ptr 0
		.amdhsa_user_sgpr_kernarg_segment_ptr 1
		.amdhsa_user_sgpr_dispatch_id 0
		.amdhsa_user_sgpr_private_segment_size 0
		.amdhsa_wavefront_size32 1
		.amdhsa_uses_dynamic_stack 0
		.amdhsa_enable_private_segment 0
		.amdhsa_system_sgpr_workgroup_id_x 1
		.amdhsa_system_sgpr_workgroup_id_y 0
		.amdhsa_system_sgpr_workgroup_id_z 0
		.amdhsa_system_sgpr_workgroup_info 0
		.amdhsa_system_vgpr_workitem_id 0
		.amdhsa_next_free_vgpr 219
		.amdhsa_next_free_sgpr 14
		.amdhsa_reserve_vcc 1
		.amdhsa_float_round_mode_32 0
		.amdhsa_float_round_mode_16_64 0
		.amdhsa_float_denorm_mode_32 3
		.amdhsa_float_denorm_mode_16_64 3
		.amdhsa_fp16_overflow 0
		.amdhsa_workgroup_processor_mode 1
		.amdhsa_memory_ordered 1
		.amdhsa_forward_progress 0
		.amdhsa_round_robin_scheduling 0
		.amdhsa_exception_fp_ieee_invalid_op 0
		.amdhsa_exception_fp_denorm_src 0
		.amdhsa_exception_fp_ieee_div_zero 0
		.amdhsa_exception_fp_ieee_overflow 0
		.amdhsa_exception_fp_ieee_underflow 0
		.amdhsa_exception_fp_ieee_inexact 0
		.amdhsa_exception_int_div_zero 0
	.end_amdhsa_kernel
	.text
.Lfunc_end0:
	.size	bluestein_single_back_len1190_dim1_half_op_CI_CI, .Lfunc_end0-bluestein_single_back_len1190_dim1_half_op_CI_CI
                                        ; -- End function
	.section	.AMDGPU.csdata,"",@progbits
; Kernel info:
; codeLenInByte = 38032
; NumSgprs: 16
; NumVgprs: 219
; ScratchSize: 0
; MemoryBound: 0
; FloatMode: 240
; IeeeMode: 1
; LDSByteSize: 14280 bytes/workgroup (compile time only)
; SGPRBlocks: 1
; VGPRBlocks: 27
; NumSGPRsForWavesPerEU: 16
; NumVGPRsForWavesPerEU: 219
; Occupancy: 6
; WaveLimiterHint : 1
; COMPUTE_PGM_RSRC2:SCRATCH_EN: 0
; COMPUTE_PGM_RSRC2:USER_SGPR: 2
; COMPUTE_PGM_RSRC2:TRAP_HANDLER: 0
; COMPUTE_PGM_RSRC2:TGID_X_EN: 1
; COMPUTE_PGM_RSRC2:TGID_Y_EN: 0
; COMPUTE_PGM_RSRC2:TGID_Z_EN: 0
; COMPUTE_PGM_RSRC2:TIDIG_COMP_CNT: 0
	.text
	.p2alignl 7, 3214868480
	.fill 96, 4, 3214868480
	.type	__hip_cuid_d2771cadc106a2e4,@object ; @__hip_cuid_d2771cadc106a2e4
	.section	.bss,"aw",@nobits
	.globl	__hip_cuid_d2771cadc106a2e4
__hip_cuid_d2771cadc106a2e4:
	.byte	0                               ; 0x0
	.size	__hip_cuid_d2771cadc106a2e4, 1

	.ident	"AMD clang version 19.0.0git (https://github.com/RadeonOpenCompute/llvm-project roc-6.4.0 25133 c7fe45cf4b819c5991fe208aaa96edf142730f1d)"
	.section	".note.GNU-stack","",@progbits
	.addrsig
	.addrsig_sym __hip_cuid_d2771cadc106a2e4
	.amdgpu_metadata
---
amdhsa.kernels:
  - .args:
      - .actual_access:  read_only
        .address_space:  global
        .offset:         0
        .size:           8
        .value_kind:     global_buffer
      - .actual_access:  read_only
        .address_space:  global
        .offset:         8
        .size:           8
        .value_kind:     global_buffer
      - .actual_access:  read_only
        .address_space:  global
        .offset:         16
        .size:           8
        .value_kind:     global_buffer
      - .actual_access:  read_only
        .address_space:  global
        .offset:         24
        .size:           8
        .value_kind:     global_buffer
      - .actual_access:  read_only
        .address_space:  global
        .offset:         32
        .size:           8
        .value_kind:     global_buffer
      - .offset:         40
        .size:           8
        .value_kind:     by_value
      - .address_space:  global
        .offset:         48
        .size:           8
        .value_kind:     global_buffer
      - .address_space:  global
        .offset:         56
        .size:           8
        .value_kind:     global_buffer
      - .address_space:  global
        .offset:         64
        .size:           8
        .value_kind:     global_buffer
      - .address_space:  global
        .offset:         72
        .size:           8
        .value_kind:     global_buffer
      - .offset:         80
        .size:           4
        .value_kind:     by_value
      - .address_space:  global
        .offset:         88
        .size:           8
        .value_kind:     global_buffer
      - .address_space:  global
        .offset:         96
        .size:           8
        .value_kind:     global_buffer
    .group_segment_fixed_size: 14280
    .kernarg_segment_align: 8
    .kernarg_segment_size: 104
    .language:       OpenCL C
    .language_version:
      - 2
      - 0
    .max_flat_workgroup_size: 255
    .name:           bluestein_single_back_len1190_dim1_half_op_CI_CI
    .private_segment_fixed_size: 0
    .sgpr_count:     16
    .sgpr_spill_count: 0
    .symbol:         bluestein_single_back_len1190_dim1_half_op_CI_CI.kd
    .uniform_work_group_size: 1
    .uses_dynamic_stack: false
    .vgpr_count:     219
    .vgpr_spill_count: 0
    .wavefront_size: 32
    .workgroup_processor_mode: 1
amdhsa.target:   amdgcn-amd-amdhsa--gfx1201
amdhsa.version:
  - 1
  - 2
...

	.end_amdgpu_metadata
